;; amdgpu-corpus repo=ROCm/aiter kind=harvested arch=n/a opt=n/a

/root/src/amdgpu-assembly/repos/ROCm__aiter/hsa/gfx942/fmha_v3_bwd/bwd_hd128_fp16_causal_a32_psskddv_group.co:	file format elf64-amdgpu

Disassembly of section .text:

0000000000003e00 <_ZN5aiter44fmha_bwd_hd128_fp16_causal_a32_psskddv_groupE>:
	s_and_b32 s1, s1, 0xffff                                   // 000000003E00: 8601FF01 0000FFFF
	s_load_dwordx2 s[32:33], s[0:1], 0x0                       // 000000003E08: C0060800 00000000
	s_load_dwordx2 s[36:37], s[0:1], 0x10                      // 000000003E10: C0060900 00000010
	s_load_dwordx2 s[40:41], s[0:1], 0x20                      // 000000003E18: C0060A00 00000020
	s_load_dwordx2 s[8:9], s[0:1], 0x30                        // 000000003E20: C0060200 00000030
	s_load_dwordx2 s[12:13], s[0:1], 0x40                      // 000000003E28: C0060300 00000040
	s_load_dwordx2 s[16:17], s[0:1], 0x50                      // 000000003E30: C0060400 00000050
	s_load_dwordx2 s[20:21], s[0:1], 0x60                      // 000000003E38: C0060500 00000060
	s_load_dwordx2 s[24:25], s[0:1], 0x70                      // 000000003E40: C0060600 00000070
	s_load_dwordx2 s[28:29], s[0:1], 0x80                      // 000000003E48: C0060700 00000080
	s_load_dword s47, s[0:1], 0x90                             // 000000003E50: C0020BC0 00000090
	s_load_dword s48, s[0:1], 0xa0                             // 000000003E58: C0020C00 000000A0
	s_load_dword s78, s[0:1], 0xd0                             // 000000003E60: C0021380 000000D0
	s_load_dword s5, s[0:1], 0xf0                              // 000000003E68: C0020140 000000F0
	s_load_dword s44, s[0:1], 0x100                            // 000000003E70: C0020B00 00000100
	s_load_dword s79, s[0:1], 0x110                            // 000000003E78: C00213C0 00000110
	s_load_dword s6, s[0:1], 0x130                             // 000000003E80: C0020180 00000130
	s_load_dword s52, s[0:1], 0x140                            // 000000003E88: C0020D00 00000140
	s_load_dword s50, s[0:1], 0x160                            // 000000003E90: C0020C80 00000160
	s_load_dword s80, s[0:1], 0x190                            // 000000003E98: C0021400 00000190
	s_load_dword s7, s[0:1], 0x1b0                             // 000000003EA0: C00201C0 000001B0
	s_load_dword s81, s[0:1], 0x1c0                            // 000000003EA8: C0021440 000001C0
	s_load_dword s51, s[0:1], 0x1e0                            // 000000003EB0: C0020CC0 000001E0
	s_load_dword s82, s[0:1], 0x1f0                            // 000000003EB8: C0021480 000001F0
	s_load_dword s83, s[0:1], 0x210                            // 000000003EC0: C00214C0 00000210
	s_load_dword s53, s[0:1], 0x230                            // 000000003EC8: C0020D40 00000230
	s_load_dword s49, s[0:1], 0x240                            // 000000003ED0: C0020C40 00000240
	s_load_dwordx2 s[88:89], s[0:1], 0x250                     // 000000003ED8: C0061600 00000250
	s_load_dwordx2 s[92:93], s[0:1], 0x260                     // 000000003EE0: C0061700 00000260
	s_load_dwordx2 s[96:97], s[0:1], 0x270                     // 000000003EE8: C0061800 00000270
	s_load_dwordx2 s[100:101], s[0:1], 0x280                   // 000000003EF0: C0061900 00000280
	v_lshrrev_b32_e32 v1, 10, v0                               // 000000003EF8: 2002008A
	v_lshrrev_b32_e32 v2, 10, v1                               // 000000003EFC: 2004028A
	v_and_b32_e32 v2, 0x3ff, v2                                // 000000003F00: 260404FF 000003FF
	v_and_b32_e32 v1, 0x3ff, v1                                // 000000003F08: 260202FF 000003FF
	v_and_b32_e32 v0, 0x3ff, v0                                // 000000003F10: 260000FF 000003FF
	v_lshrrev_b32_e32 v3, 6, v0                                // 000000003F18: 20060086
	v_and_b32_e32 v0, 63, v0                                   // 000000003F1C: 260000BF
	s_mov_b32 s2, s2                                           // 000000003F20: BE820002
	s_mov_b32 s3, s3                                           // 000000003F24: BE830003
	s_mov_b32 s4, s4                                           // 000000003F28: BE840004
	v_readfirstlane_b32 s46, v3                                // 000000003F2C: 7E5C0503
	s_waitcnt lgkmcnt(0)                                       // 000000003F30: BF8CC07F
	s_mul_i32 s60, s4, 4                                       // 000000003F34: 923C8404
	s_add_u32 s88, s60, s88                                    // 000000003F38: 8058583C
	s_addc_u32 s89, 0, s89                                     // 000000003F3C: 82595980
	s_load_dwordx2 s[84:85], s[88:89], 0x0                     // 000000003F40: C006152C 00000000
	s_add_u32 s96, s60, s96                                    // 000000003F48: 8060603C
	s_addc_u32 s97, 0, s97                                     // 000000003F4C: 82616180
	s_load_dword s90, s[96:97], 0x0                            // 000000003F50: C00216B0 00000000
	s_add_u32 s92, s60, s92                                    // 000000003F58: 805C5C3C
	s_addc_u32 s93, 0, s93                                     // 000000003F5C: 825D5D80
	s_load_dwordx2 s[86:87], s[92:93], 0x0                     // 000000003F60: C00615AE 00000000
	s_add_u32 s100, s60, s100                                  // 000000003F68: 8064643C
	s_addc_u32 s101, 0, s101                                   // 000000003F6C: 82656580
	s_load_dword s94, s[100:101], 0x0                          // 000000003F70: C00217B2 00000000
	s_mov_b32 s11, 0x20000                                     // 000000003F78: BE8B00FF 00020000
	s_mov_b32 s15, 0x20000                                     // 000000003F80: BE8F00FF 00020000
	s_mov_b32 s19, 0x20000                                     // 000000003F88: BE9300FF 00020000
	s_mov_b32 s23, 0x20000                                     // 000000003F90: BE9700FF 00020000
	s_mov_b32 s27, 0x20000                                     // 000000003F98: BE9B00FF 00020000
	s_mov_b32 s31, 0x20000                                     // 000000003FA0: BE9F00FF 00020000
	s_mov_b32 s35, 0x20000                                     // 000000003FA8: BEA300FF 00020000
	s_mov_b32 s39, 0x20000                                     // 000000003FB0: BEA700FF 00020000
	s_mov_b32 s43, 0x20000                                     // 000000003FB8: BEAB00FF 00020000
	s_and_b32 s9, s9, 0xffff                                   // 000000003FC0: 8609FF09 0000FFFF
	s_and_b32 s13, s13, 0xffff                                 // 000000003FC8: 860DFF0D 0000FFFF
	s_and_b32 s17, s17, 0xffff                                 // 000000003FD0: 8611FF11 0000FFFF
	s_and_b32 s21, s21, 0xffff                                 // 000000003FD8: 8615FF15 0000FFFF
	s_and_b32 s25, s25, 0xffff                                 // 000000003FE0: 8619FF19 0000FFFF
	s_and_b32 s29, s29, 0xffff                                 // 000000003FE8: 861DFF1D 0000FFFF
	s_and_b32 s33, s33, 0xffff                                 // 000000003FF0: 8621FF21 0000FFFF
	s_and_b32 s37, s37, 0xffff                                 // 000000003FF8: 8625FF25 0000FFFF
	s_and_b32 s41, s41, 0xffff                                 // 000000004000: 8629FF29 0000FFFF
	s_or_b32 s9, s9, 0x40000                                   // 000000004008: 8709FF09 00040000
	s_or_b32 s13, s13, 0x40000                                 // 000000004010: 870DFF0D 00040000
	s_or_b32 s17, s17, 0x40000                                 // 000000004018: 8711FF11 00040000
	s_or_b32 s21, s21, 0x40000                                 // 000000004020: 8715FF15 00040000
	s_or_b32 s25, s25, 0x40000                                 // 000000004028: 8719FF19 00040000
	s_or_b32 s29, s29, 0x40000                                 // 000000004030: 871DFF1D 00040000
	s_or_b32 s33, s33, 0x40000                                 // 000000004038: 8721FF21 00040000
	s_or_b32 s37, s37, 0x40000                                 // 000000004040: 8725FF25 00040000
	s_or_b32 s41, s41, 0x40000                                 // 000000004048: 8729FF29 00040000
	v_accvgpr_write_b32 a255, 0                                // 000000004050: D3D940FF 18000080
	v_mov_b32_e32 v251, 0                                      // 000000004058: 7FF60280
	s_mov_b32 s71, s3                                          // 00000000405C: BEC70003
	v_cvt_f32_u32_e32 v28, s44                                 // 000000004060: 7E380C2C
	s_sub_i32 s60, 0, s44                                      // 000000004064: 81BC2C80
	v_rcp_iflag_f32_e32 v28, v28                               // 000000004068: 7E38471C
	s_nop 0                                                    // 00000000406C: BF800000
	v_mul_f32_e32 v28, 0x4f7ffffe, v28                         // 000000004070: 0A3838FF 4F7FFFFE
	v_cvt_u32_f32_e32 v28, v28                                 // 000000004078: 7E380F1C
	v_mul_lo_u32 v29, s60, v28                                 // 00000000407C: D285001D 0002383C
	v_mul_hi_u32 v29, v28, v29                                 // 000000004084: D286001D 00023B1C
	v_add_u32_e32 v28, v28, v29                                // 00000000408C: 68383B1C
	v_mul_hi_u32 v28, s71, v28                                 // 000000004090: D286001C 00023847
	v_mul_lo_u32 v29, v28, s44                                 // 000000004098: D285001D 0000591C
	v_sub_u32_e32 v31, s71, v29                                // 0000000040A0: 6A3E3A47
	v_add_u32_e32 v30, 1, v28                                  // 0000000040A4: 683C3881
	v_cmp_le_u32_e32 vcc, s44, v31                             // 0000000040A8: 7D963E2C
	v_subrev_u32_e32 v29, s44, v31                             // 0000000040AC: 6C3A3E2C
	s_nop 0                                                    // 0000000040B0: BF800000
	v_cndmask_b32_e32 v28, v28, v30, vcc                       // 0000000040B4: 00383D1C
	v_cndmask_b32_e32 v31, v31, v29, vcc                       // 0000000040B8: 003E3B1F
	v_add_u32_e32 v29, 1, v28                                  // 0000000040BC: 683A3881
	v_cmp_le_u32_e32 vcc, s44, v31                             // 0000000040C0: 7D963E2C
	s_nop 1                                                    // 0000000040C4: BF800001
	v_cndmask_b32_e32 v31, v28, v29, vcc                       // 0000000040C8: 003E3B1C
	s_nop 3                                                    // 0000000040CC: BF800003
	v_readfirstlane_b32 s45, v31                               // 0000000040D0: 7E5A051F
	s_nop 3                                                    // 0000000040D4: BF800003
	s_waitcnt lgkmcnt(0)                                       // 0000000040D8: BF8CC07F
	s_mul_i32 s61, s2, 0x180                                   // 0000000040DC: 923DFF02 00000180
	s_sub_i32 s87, s87, s86                                    // 0000000040E4: 81D75657
	s_mov_b32 s86, s94                                         // 0000000040E8: BED6005E
	s_sub_i32 s85, s85, s84                                    // 0000000040EC: 81D55455
	s_mov_b32 s84, s90                                         // 0000000040F0: BED4005A
	s_cmp_gt_i32 s85, 0                                        // 0000000040F4: BF028055
	s_cbranch_scc0 label_1B38                                  // 0000000040F8: BF841A65
	s_mov_b32 s59, 0                                           // 0000000040FC: BEBB0080
	s_mov_b32 s58, s85                                         // 000000004100: BEBA0055
	s_cmp_ge_i32 s61, s87                                      // 000000004104: BF03573D
	s_cbranch_scc1 label_1B38                                  // 000000004108: BF851A61
	s_mul_i32 s61, s45, s79                                    // 00000000410C: 923D4F2D
	s_mov_b32 s54, s61                                         // 000000004110: BEB6003D
	s_add_u32 s12, s54, s12                                    // 000000004114: 800C0C36
	s_addc_u32 s13, 0, s13                                     // 000000004118: 820D0D80
	s_mul_i32 s60, s86, s6                                     // 00000000411C: 923C0656
	s_mul_hi_u32 s61, s86, s6                                  // 000000004120: 963D0656
	s_and_b32 s61, s61, 0xffff                                 // 000000004124: 863DFF3D 0000FFFF
	s_add_u32 s12, s12, s60                                    // 00000000412C: 800C3C0C
	s_addc_u32 s13, s13, s61                                   // 000000004130: 820D3D0D
	s_mul_i32 s61, s45, s80                                    // 000000004134: 923D502D
	s_mov_b32 s54, s61                                         // 000000004138: BEB6003D
	s_add_u32 s16, s54, s16                                    // 00000000413C: 80101036
	s_addc_u32 s17, 0, s17                                     // 000000004140: 82111180
	s_mul_i32 s60, s86, s7                                     // 000000004144: 923C0756
	s_mul_hi_u32 s61, s86, s7                                  // 000000004148: 963D0756
	s_and_b32 s61, s61, 0xffff                                 // 00000000414C: 863DFF3D 0000FFFF
	s_add_u32 s16, s16, s60                                    // 000000004154: 80103C10
	s_addc_u32 s17, s17, s61                                   // 000000004158: 82113D11
	s_mul_i32 s61, s3, s78                                     // 00000000415C: 923D4E03
	s_mov_b32 s55, s61                                         // 000000004160: BEB7003D
	s_add_u32 s8, s55, s8                                      // 000000004164: 80080837
	s_addc_u32 s9, 0, s9                                       // 000000004168: 82090980
	s_mul_i32 s60, s84, s5                                     // 00000000416C: 923C0554
	s_mul_hi_u32 s61, s84, s5                                  // 000000004170: 963D0554
	s_and_b32 s61, s61, 0xffff                                 // 000000004174: 863DFF3D 0000FFFF
	s_add_u32 s8, s8, s60                                      // 00000000417C: 80083C08
	s_addc_u32 s9, s9, s61                                     // 000000004180: 82093D09
	s_mul_i32 s61, s3, s81                                     // 000000004184: 923D5103
	s_mov_b32 s56, s61                                         // 000000004188: BEB8003D
	s_add_u32 s20, s56, s20                                    // 00000000418C: 80141438
	s_addc_u32 s21, 0, s21                                     // 000000004190: 82151580
	s_mul_i32 s60, s84, s51                                    // 000000004194: 923C3354
	s_mul_hi_u32 s61, s84, s51                                 // 000000004198: 963D3354
	s_and_b32 s61, s61, 0xffff                                 // 00000000419C: 863DFF3D 0000FFFF
	s_add_u32 s20, s20, s60                                    // 0000000041A4: 80143C14
	s_addc_u32 s21, s21, s61                                   // 0000000041A8: 82153D15
	s_mul_i32 s62, 4, s84                                      // 0000000041AC: 923E5484
	s_mul_i32 s61, s3, s49                                     // 0000000041B0: 923D3103
	s_add_u32 s65, s61, s62                                    // 0000000041B4: 80413E3D
	s_mov_b32 s26, s85                                         // 0000000041B8: BE9A0055
	s_mov_b32 s30, s85                                         // 0000000041BC: BE9E0055
	s_add_u32 s24, s65, s24                                    // 0000000041C0: 80181841
	s_addc_u32 s25, 0, s25                                     // 0000000041C4: 82191980
	s_add_u32 s28, s65, s28                                    // 0000000041C8: 801C1C41
	s_addc_u32 s29, 0, s29                                     // 0000000041CC: 821D1D80
	s_mul_i32 s61, s3, s82                                     // 0000000041D0: 923D5203
	s_mul_i32 s62, s86, s52                                    // 0000000041D4: 923E3456
	s_add_u32 s60, s61, s62                                    // 0000000041D8: 803C3E3D
	s_mul_hi_u32 s61, s86, s52                                 // 0000000041DC: 963D3456
	s_and_b32 s61, s61, 0xffff                                 // 0000000041E0: 863DFF3D 0000FFFF
	s_add_u32 s36, s60, s36                                    // 0000000041E8: 8024243C
	s_addc_u32 s37, s61, s37                                   // 0000000041EC: 8225253D
	s_mul_i32 s60, s87, s52                                    // 0000000041F0: 923C3457
	s_lshr_b32 s60, s60, 2                                     // 0000000041F4: 8F3C823C
	s_mov_b32 s38, s60                                         // 0000000041F8: BEA6003C
	s_mul_i32 s61, s3, s83                                     // 0000000041FC: 923D5303
	s_mul_i32 s62, s86, s53                                    // 000000004200: 923E3556
	s_add_u32 s60, s61, s62                                    // 000000004204: 803C3E3D
	s_mul_hi_u32 s61, s86, s53                                 // 000000004208: 963D3556
	s_and_b32 s61, s61, 0xffff                                 // 00000000420C: 863DFF3D 0000FFFF
	s_add_u32 s40, s60, s40                                    // 000000004214: 8028283C
	s_addc_u32 s41, s61, s41                                   // 000000004218: 8229293D
	s_mul_i32 s60, s87, s53                                    // 00000000421C: 923C3557
	s_lshr_b32 s60, s60, 2                                     // 000000004220: 8F3C823C
	s_mov_b32 s42, s60                                         // 000000004224: BEAA003C
	s_mul_i32 s60, s50, s65                                    // 000000004228: 923C4132
	s_mul_hi_u32 s62, s50, s65                                 // 00000000422C: 963E4132
	s_and_b32 s62, s62, 0xffff                                 // 000000004230: 863EFF3E 0000FFFF
	s_add_u32 s32, s60, s32                                    // 000000004238: 8020203C
	s_addc_u32 s33, s62, s33                                   // 00000000423C: 8221213E
	s_mul_i32 s60, s50, s85                                    // 000000004240: 923C5532
	s_lshl_b32 s60, s60, 2                                     // 000000004244: 8E3C823C
	s_mov_b32 s34, s60                                         // 000000004248: BEA2003C
	s_mov_b32 s90, s8                                          // 00000000424C: BEDA0008
	s_mov_b32 s94, s12                                         // 000000004250: BEDE000C
	s_mov_b32 s96, s16                                         // 000000004254: BEE00010
	s_mov_b32 s98, s20                                         // 000000004258: BEE20014
	s_mov_b32 s91, s9                                          // 00000000425C: BEDB0009
	s_mov_b32 s95, s13                                         // 000000004260: BEDF000D
	s_mov_b32 s97, s17                                         // 000000004264: BEE10011
	s_mov_b32 s99, s21                                         // 000000004268: BEE30015
	s_add_u32 s71, 0xbf, s87                                   // 00000000426C: 804757FF 000000BF
	s_mov_b32 s74, 0xc0                                        // 000000004274: BECA00FF 000000C0
	v_cvt_f32_u32_e32 v28, s74                                 // 00000000427C: 7E380C4A
	s_sub_i32 s60, 0, s74                                      // 000000004280: 81BC4A80
	v_rcp_iflag_f32_e32 v28, v28                               // 000000004284: 7E38471C
	s_nop 0                                                    // 000000004288: BF800000
	v_mul_f32_e32 v28, 0x4f7ffffe, v28                         // 00000000428C: 0A3838FF 4F7FFFFE
	v_cvt_u32_f32_e32 v28, v28                                 // 000000004294: 7E380F1C
	v_mul_lo_u32 v29, s60, v28                                 // 000000004298: D285001D 0002383C
	v_mul_hi_u32 v29, v28, v29                                 // 0000000042A0: D286001D 00023B1C
	v_add_u32_e32 v28, v28, v29                                // 0000000042A8: 68383B1C
	v_mul_hi_u32 v28, s71, v28                                 // 0000000042AC: D286001C 00023847
	v_mul_lo_u32 v29, v28, s74                                 // 0000000042B4: D285001D 0000951C
	v_sub_u32_e32 v31, s71, v29                                // 0000000042BC: 6A3E3A47
	v_add_u32_e32 v30, 1, v28                                  // 0000000042C0: 683C3881
	v_cmp_le_u32_e32 vcc, s74, v31                             // 0000000042C4: 7D963E4A
	v_subrev_u32_e32 v29, s74, v31                             // 0000000042C8: 6C3A3E4A
	s_nop 0                                                    // 0000000042CC: BF800000
	v_cndmask_b32_e32 v28, v28, v30, vcc                       // 0000000042D0: 00383D1C
	v_cndmask_b32_e32 v31, v31, v29, vcc                       // 0000000042D4: 003E3B1F
	v_add_u32_e32 v29, 1, v28                                  // 0000000042D8: 683A3881
	v_cmp_le_u32_e32 vcc, s74, v31                             // 0000000042DC: 7D963E4A
	s_nop 1                                                    // 0000000042E0: BF800001
	v_cndmask_b32_e32 v31, v28, v29, vcc                       // 0000000042E4: 003E3B1C
	s_nop 3                                                    // 0000000042E8: BF800003
	v_readfirstlane_b32 s77, v31                               // 0000000042EC: 7E9A051F
	s_nop 3                                                    // 0000000042F0: BF800003
	v_mov_b32_e32 v28, s47                                     // 0000000042F4: 7E38022F
	v_mul_f32_e32 v28, s48, v28                                // 0000000042F8: 0A383830
	s_mov_b32 s63, 0x5040100                                   // 0000000042FC: BEBF00FF 05040100
	s_mov_b32 s64, 0x7060302                                   // 000000004304: BEC000FF 07060302
	v_readfirstlane_b32 s57, v28                               // 00000000430C: 7E72051C
	v_mov_b32_e32 v30, 0x3020706                               // 000000004310: 7E3C02FF 03020706
	v_mov_b32_e32 v28, s63                                     // 000000004318: 7E38023F
	v_and_b32_e32 v29, 1, v0                                   // 00000000431C: 263A0081
	v_cmp_eq_u32_e32 vcc, 1, v29                               // 000000004320: 7D943A81
	s_mul_i32 s60, s50, 64                                     // 000000004324: 923CC032
	s_mov_b32 s67, s60                                         // 000000004328: BEC3003C
	v_cndmask_b32_e32 v15, v28, v30, vcc                       // 00000000432C: 001E3D1C
	s_cmp_lt_u32 s46, 2                                        // 000000004330: BF0A822E
	s_cselect_b32 s24, s24, s28                                // 000000004334: 85181C18
	s_cselect_b32 s25, s25, s29                                // 000000004338: 85191D19
	s_cselect_b32 s26, s26, s30                                // 00000000433C: 851A1E1A
	s_cselect_b32 s27, s27, s31                                // 000000004340: 851B1F1B
	s_lshr_b32 s60, s46, 1                                     // 000000004344: 8F3C812E
	s_lshl_b32 s60, s60, 8                                     // 000000004348: 8E3C883C
	s_add_u32 s78, 0xc600, s60                                 // 00000000434C: 804E3CFF 0000C600
	s_add_u32 s79, 0x200, s78                                  // 000000004354: 804F4EFF 00000200
	s_mov_b32 s75, 0                                           // 00000000435C: BECB0080
	s_mov_b32 s76, 1                                           // 000000004360: BECC0081
	s_lshl_b32 s60, s2, 1                                      // 000000004364: 8E3C8102
	s_add_u32 s60, 1, s60                                      // 000000004368: 803C3C81
	s_cmp_ge_i32 s60, s77                                      // 00000000436C: BF034D3C
	s_cselect_b32 s76, s76, 2                                  // 000000004370: 854C824C

0000000000004374 <label_015D>:
	v_lshrrev_b32_e32 v28, 2, v0                               // 000000004374: 20380082
	v_and_b32_e32 v29, 3, v28                                  // 000000004378: 263A3883
	v_lshrrev_b32_e32 v30, 3, v28                              // 00000000437C: 203C3883
	v_lshlrev_b32_e32 v30, 2, v30                              // 000000004380: 243C3C82
	v_add_u32_e32 v28, v30, v29                                // 000000004384: 68383B1E
	s_lshr_b32 s60, s46, 1                                     // 000000004388: 8F3C812E
	s_sub_i32 s60, 1, s60                                      // 00000000438C: 81BC3C81
	v_mul_i32_i24_e64 v29, s60, 8                              // 000000004390: D106001D 0001103C
	v_mov_b32_e32 v30, s50                                     // 000000004398: 7E3C0232
	v_sub_u32_e64 v30, v30, 64                                 // 00000000439C: D135001E 0001811E
	v_lshrrev_b32_e32 v30, 3, v30                              // 0000000043A4: 203C3C83
	v_add_u32_e32 v29, v30, v29                                // 0000000043A8: 683A3B1E
	v_cmp_lt_u32_e64 s[80:81], v28, v29                        // 0000000043AC: D0C90050 00023B1C
	s_mov_b32 m0, s78                                          // 0000000043B4: BEFC004E
	s_mov_b32 s66, 0                                           // 0000000043B8: BEC20080
	v_mov_b32_e32 v151, 0xff800000                             // 0000000043BC: 7F2E02FF FF800000
	s_mov_b32 s74, 0                                           // 0000000043C4: BECA0080
	s_mul_i32 s68, 4, s5                                       // 0000000043C8: 92440584
	s_mul_i32 s100, 4, s51                                     // 0000000043CC: 92643384
	s_mov_b32 s69, 16                                          // 0000000043D0: BEC50090
	s_mul_i32 s59, 0xc0, s2                                    // 0000000043D4: 923B02FF 000000C0
	s_mul_i32 s54, s6, s59                                     // 0000000043DC: 92363B06
	s_sub_i32 s61, s87, s59                                    // 0000000043E0: 81BD3B57
	s_mul_i32 s62, s6, s61                                     // 0000000043E4: 923E3D06
	s_lshr_b32 s62, s62, 2                                     // 0000000043E8: 8F3E823E
	s_mov_b32 s14, s62                                         // 0000000043EC: BE8E003E
	s_add_u32 s12, s54, s94                                    // 0000000043F0: 800C5E36
	s_addc_u32 s13, 0, s95                                     // 0000000043F4: 820D5F80
	s_mul_i32 s54, s7, s59                                     // 0000000043F8: 92363B07
	s_mul_i32 s62, s7, s61                                     // 0000000043FC: 923E3D07
	s_lshr_b32 s62, s62, 2                                     // 000000004400: 8F3E823E
	s_mov_b32 s18, s62                                         // 000000004404: BE92003E
	s_add_u32 s16, s54, s96                                    // 000000004408: 80106036
	s_addc_u32 s17, 0, s97                                     // 00000000440C: 82116180
	s_mov_b32 s71, s6                                          // 000000004410: BEC70006
	v_lshrrev_b32_e32 v28, 4, v0                               // 000000004414: 20380084
	v_and_b32_e32 v29, 1, v28                                  // 000000004418: 263A3881
	v_lshlrev_b32_e32 v29, 1, v29                              // 00000000441C: 243A3A81
	v_mul_i32_i24_e32 v29, s71, v29                            // 000000004420: 0C3A3A47
	v_and_b32_e32 v30, 2, v28                                  // 000000004424: 263C3882
	v_lshlrev_b32_e32 v30, 5, v30                              // 000000004428: 243C3C85
	v_add_u32_e32 v29, v30, v29                                // 00000000442C: 683A3B1E
	v_and_b32_e32 v28, 15, v0                                  // 000000004430: 2638008F
	v_lshlrev_b32_e32 v28, 2, v28                              // 000000004434: 24383882
	v_add_u32_e32 v1, v28, v29                                 // 000000004438: 68023B1C
	s_and_b32 s60, 1, s46                                      // 00000000443C: 863C2E81
	s_mul_i32 s60, s60, s71                                    // 000000004440: 923C473C
	s_mul_i32 s60, s60, 8                                      // 000000004444: 923C883C
	s_lshr_b32 s61, s46, 1                                     // 000000004448: 8F3D812E
	s_mul_i32 s61, s61, 0x80                                   // 00000000444C: 923DFF3D 00000080
	s_add_u32 s60, s60, s61                                    // 000000004454: 803C3D3C
	v_add_u32_e32 v1, s60, v1                                  // 000000004458: 6802023C
	v_add_u32_e32 v2, s71, v1                                  // 00000000445C: 68040247
	s_mul_i32 s60, 4, s71                                      // 000000004460: 923C4784
	v_add_u32_e32 v3, s60, v1                                  // 000000004464: 6806023C
	v_add_u32_e32 v4, s60, v2                                  // 000000004468: 6808043C
	s_mov_b32 s71, s7                                          // 00000000446C: BEC70007
	v_lshrrev_b32_e32 v28, 4, v0                               // 000000004470: 20380084
	v_and_b32_e32 v29, 1, v28                                  // 000000004474: 263A3881
	v_lshlrev_b32_e32 v29, 1, v29                              // 000000004478: 243A3A81
	v_mul_i32_i24_e32 v29, s71, v29                            // 00000000447C: 0C3A3A47
	v_and_b32_e32 v30, 2, v28                                  // 000000004480: 263C3882
	v_lshlrev_b32_e32 v30, 5, v30                              // 000000004484: 243C3C85
	v_add_u32_e32 v29, v30, v29                                // 000000004488: 683A3B1E
	v_and_b32_e32 v28, 15, v0                                  // 00000000448C: 2638008F
	v_lshlrev_b32_e32 v28, 2, v28                              // 000000004490: 24383882
	v_add_u32_e32 v248, v28, v29                               // 000000004494: 69F03B1C
	s_and_b32 s60, 1, s46                                      // 000000004498: 863C2E81
	s_mul_i32 s60, s60, s71                                    // 00000000449C: 923C473C
	s_mul_i32 s60, s60, 8                                      // 0000000044A0: 923C883C
	s_lshr_b32 s61, s46, 1                                     // 0000000044A4: 8F3D812E
	s_mul_i32 s61, s61, 0x80                                   // 0000000044A8: 923DFF3D 00000080
	s_add_u32 s60, s60, s61                                    // 0000000044B0: 803C3D3C
	v_add_u32_e32 v248, s60, v248                              // 0000000044B4: 69F1F03C
	v_add_u32_e32 v249, s71, v248                              // 0000000044B8: 69F3F047
	s_mul_i32 s60, 4, s71                                      // 0000000044BC: 923C4784
	v_add_u32_e32 v250, s60, v248                              // 0000000044C0: 69F5F03C
	v_add_u32_e32 v251, s60, v249                              // 0000000044C4: 69F7F23C
	v_lshrrev_b32_e32 v1, 2, v1                                // 0000000044C8: 20020282
	v_lshrrev_b32_e32 v2, 2, v2                                // 0000000044CC: 20040482
	v_lshrrev_b32_e32 v3, 2, v3                                // 0000000044D0: 20060682
	v_lshrrev_b32_e32 v4, 2, v4                                // 0000000044D4: 20080882
	v_lshrrev_b32_e32 v248, 2, v248                            // 0000000044D8: 21F1F082
	v_lshrrev_b32_e32 v249, 2, v249                            // 0000000044DC: 21F3F282
	v_lshrrev_b32_e32 v250, 2, v250                            // 0000000044E0: 21F5F482
	v_lshrrev_b32_e32 v251, 2, v251                            // 0000000044E4: 21F7F682
	s_mov_b32 s70, s52                                         // 0000000044E8: BEC60034
	v_lshrrev_b32_e32 v28, 4, v0                               // 0000000044EC: 20380084
	v_mul_i32_i24_e32 v5, s70, v28                             // 0000000044F0: 0C0A3846
	v_lshrrev_b32_e32 v5, 2, v5                                // 0000000044F4: 200A0A82
	v_and_b32_e32 v28, 15, v0                                  // 0000000044F8: 2638008F
	v_lshlrev_b32_e32 v29, 2, v28                              // 0000000044FC: 243A3882
	v_add_u32_e32 v5, v29, v5                                  // 000000004500: 680A0B1D
	s_mul_i32 s60, 16, s70                                     // 000000004504: 923C4690
	s_mul_i32 s60, s46, s60                                    // 000000004508: 923C3C2E
	v_lshlrev_b32_e32 v5, 2, v5                                // 00000000450C: 240A0A82
	v_add_u32_e32 v5, s60, v5                                  // 000000004510: 680A0A3C
	s_mul_i32 s60, s52, s59                                    // 000000004514: 923C3B34
	v_add_u32_e32 v5, s60, v5                                  // 000000004518: 680A0A3C
	v_lshrrev_b32_e32 v5, 2, v5                                // 00000000451C: 200A0A82
	s_mov_b32 s70, s53                                         // 000000004520: BEC60035
	v_lshrrev_b32_e32 v28, 4, v0                               // 000000004524: 20380084
	v_mul_i32_i24_e32 v6, s70, v28                             // 000000004528: 0C0C3846
	v_lshrrev_b32_e32 v6, 2, v6                                // 00000000452C: 200C0C82
	v_and_b32_e32 v28, 15, v0                                  // 000000004530: 2638008F
	v_lshlrev_b32_e32 v29, 2, v28                              // 000000004534: 243A3882
	v_add_u32_e32 v6, v29, v6                                  // 000000004538: 680C0D1D
	s_mul_i32 s60, 16, s70                                     // 00000000453C: 923C4690
	s_mul_i32 s60, s46, s60                                    // 000000004540: 923C3C2E
	v_lshlrev_b32_e32 v6, 2, v6                                // 000000004544: 240C0C82
	v_add_u32_e32 v6, s60, v6                                  // 000000004548: 680C0C3C
	s_mul_i32 s60, s53, s59                                    // 00000000454C: 923C3B35
	v_add_u32_e32 v6, s60, v6                                  // 000000004550: 680C0C3C
	v_lshrrev_b32_e32 v6, 2, v6                                // 000000004554: 200C0C82
	s_cmp_ge_i32 s59, s85                                      // 000000004558: BF03553B
	s_cselect_b32 s59, s85, s59                                // 00000000455C: 853B3B55
	s_add_u32 s73, 16, s59                                     // 000000004560: 80493B90
	s_mul_i32 s55, s5, s59                                     // 000000004564: 92373B05
	s_sub_i32 s61, s85, s59                                    // 000000004568: 81BD3B55
	s_mul_i32 s62, s5, s61                                     // 00000000456C: 923E3D05
	s_lshr_b32 s62, s62, 2                                     // 000000004570: 8F3E823E
	s_mov_b32 s10, s62                                         // 000000004574: BE8A003E
	s_add_u32 s8, s55, s90                                     // 000000004578: 80085A37
	s_addc_u32 s9, 0, s91                                      // 00000000457C: 82095B80
	s_mul_i32 s56, s51, s59                                    // 000000004580: 92383B33
	s_mul_i32 s62, s51, s61                                    // 000000004584: 923E3D33
	s_lshr_b32 s62, s62, 2                                     // 000000004588: 8F3E823E
	s_mov_b32 s22, s62                                         // 00000000458C: BE96003E
	s_add_u32 s20, s56, s98                                    // 000000004590: 80146238
	s_addc_u32 s21, 0, s99                                     // 000000004594: 82156380
	s_mul_i32 s65, s59, 4                                      // 000000004598: 9241843B
	v_and_b32_e32 v9, 15, v0                                   // 00000000459C: 2612008F
	v_lshlrev_b32_e32 v9, 2, v9                                // 0000000045A0: 24121282
	v_add_u32_e32 v9, s65, v9                                  // 0000000045A4: 68121241
	v_lshrrev_b32_e32 v9, 2, v9                                // 0000000045A8: 20121282
	v_lshrrev_b32_e32 v28, 5, v0                               // 0000000045AC: 20380085
	v_mul_i32_i24_e64 v29, s50, 2                              // 0000000045B0: D106001D 00010432
	v_mul_i32_i24_e32 v7, v29, v28                             // 0000000045B8: 0C0E391D
	v_and_b32_e32 v28, 31, v0                                  // 0000000045BC: 2638009F
	v_add_u32_e32 v7, v28, v7                                  // 0000000045C0: 680E0F1C
	s_mul_i32 s60, 4, s50                                      // 0000000045C4: 923C3284
	s_mul_i32 s60, s46, s60                                    // 0000000045C8: 923C3C2E
	v_add_u32_e32 v7, s60, v7                                  // 0000000045CC: 680E0E3C
	v_lshlrev_b32_e32 v7, 2, v7                                // 0000000045D0: 240E0E82
	v_mul_i32_i24_e32 v29, 2, v29                              // 0000000045D4: 0C3A3A82
	v_add_u32_e32 v8, v29, v7                                  // 0000000045D8: 68100F1D
	s_mul_i32 s60, s50, s65                                    // 0000000045DC: 923C4132
	v_add_u32_e32 v7, s60, v7                                  // 0000000045E0: 680E0E3C
	v_add_u32_e32 v8, s60, v8                                  // 0000000045E4: 6810103C
	s_mul_i32 s60, 3, s2                                       // 0000000045E8: 923C0283
	s_add_u32 s61, s87, 63                                     // 0000000045EC: 803DBF57
	s_lshr_b32 s61, s61, 6                                     // 0000000045F0: 8F3D863D
	s_sub_i32 s72, s61, s60                                    // 0000000045F4: 81C83C3D
	s_cmp_lt_i32 s72, 3                                        // 0000000045F8: BF048348
	s_cselect_b32 s72, s72, 3                                  // 0000000045FC: 85488348
	s_mul_i32 s60, 0xc0, s2                                    // 000000004600: 923C02FF 000000C0
	s_sub_i32 s84, s87, s60                                    // 000000004608: 81D43C57
	v_and_b32_e32 v28, 31, v0                                  // 00000000460C: 2638009F
	v_lshrrev_b32_e32 v28, 1, v28                              // 000000004610: 20383881
	v_and_b32_e32 v29, 1, v28                                  // 000000004614: 263A3881
	v_lshlrev_b32_e32 v29, 4, v29                              // 000000004618: 243A3A84
	v_and_b32_e32 v30, 2, v28                                  // 00000000461C: 263C3882
	v_lshlrev_b32_e32 v30, 2, v30                              // 000000004620: 243C3C82
	v_add_u32_e32 v29, v30, v29                                // 000000004624: 683A3B1E
	v_and_b32_e32 v30, 12, v28                                 // 000000004628: 263C388C
	v_lshrrev_b32_e32 v30, 1, v30                              // 00000000462C: 203C3C81
	v_add_u32_e32 v29, v30, v29                                // 000000004630: 683A3B1E
	v_lshrrev_b32_e32 v28, 5, v0                               // 000000004634: 20380085
	v_mul_i32_i24_e32 v30, 0x80, v28                           // 000000004638: 0C3C38FF 00000080
	v_add_u32_e32 v29, v30, v29                                // 000000004640: 683A3B1E
	v_and_b32_e32 v30, 1, v0                                   // 000000004644: 263C0081
	v_add_u32_e32 v11, v30, v29                                // 000000004648: 68163B1E
	s_and_b32 s60, 1, s46                                      // 00000000464C: 863C2E81
	s_mul_i32 s60, s60, 64                                     // 000000004650: 923CC03C
	s_lshr_b32 s61, s46, 1                                     // 000000004654: 8F3D812E
	s_mul_i32 s61, s61, 0x220                                  // 000000004658: 923DFF3D 00000220
	s_add_u32 s60, s60, s61                                    // 000000004660: 803C3D3C
	v_add_u32_e32 v11, s60, v11                                // 000000004664: 6816163C
	v_lshlrev_b32_e32 v11, 2, v11                              // 000000004668: 24161682
	v_lshrrev_b32_e32 v28, 4, v0                               // 00000000466C: 20380084
	v_and_b32_e32 v29, 1, v28                                  // 000000004670: 263A3881
	v_lshlrev_b32_e32 v29, 4, v29                              // 000000004674: 243A3A84
	v_and_b32_e32 v30, 2, v28                                  // 000000004678: 263C3882
	v_mul_i32_i24_e32 v30, 4, v30                              // 00000000467C: 0C3C3C84
	v_add_u32_e32 v29, v30, v29                                // 000000004680: 683A3B1E
	v_and_b32_e32 v28, 15, v0                                  // 000000004684: 2638008F
	v_lshrrev_b32_e32 v30, 2, v28                              // 000000004688: 203C3882
	v_lshlrev_b32_e32 v30, 5, v30                              // 00000000468C: 243C3C85
	v_add_u32_e32 v29, v30, v29                                // 000000004690: 683A3B1E
	v_and_b32_e32 v28, 3, v0                                   // 000000004694: 26380083
	v_and_b32_e32 v30, 1, v28                                  // 000000004698: 263C3881
	v_mul_i32_i24_e32 v30, 0x108, v30                          // 00000000469C: 0C3C3CFF 00000108
	v_add_u32_e32 v29, v30, v29                                // 0000000046A4: 683A3B1E
	v_and_b32_e32 v30, 2, v28                                  // 0000000046A8: 263C3882
	v_lshlrev_b32_e32 v30, 1, v30                              // 0000000046AC: 243C3C81
	v_add_u32_e32 v10, v30, v29                                // 0000000046B0: 68143B1E
	v_lshlrev_b32_e32 v10, 2, v10                              // 0000000046B4: 24141482
	s_mul_i32 s60, s46, 0x1100                                 // 0000000046B8: 923CFF2E 00001100
	v_add_u32_e32 v22, s60, v10                                // 0000000046C0: 682C143C
	v_lshrrev_b32_e32 v28, 5, v0                               // 0000000046C4: 20380085
	v_mul_i32_i24_e32 v13, 0x80, v28                           // 0000000046C8: 0C1A38FF 00000080
	v_and_b32_e32 v28, 31, v0                                  // 0000000046D0: 2638009F
	v_and_b32_e32 v29, 7, v28                                  // 0000000046D4: 263A3887
	v_and_b32_e32 v30, 1, v29                                  // 0000000046D8: 263C3A81
	v_lshlrev_b32_e32 v30, 2, v30                              // 0000000046DC: 243C3C82
	v_add_u32_e32 v13, v30, v13                                // 0000000046E0: 681A1B1E
	v_and_b32_e32 v30, 2, v29                                  // 0000000046E4: 263C3A82
	v_lshlrev_b32_e32 v30, 3, v30                              // 0000000046E8: 243C3C83
	v_add_u32_e32 v13, v30, v13                                // 0000000046EC: 681A1B1E
	v_and_b32_e32 v30, 4, v29                                  // 0000000046F0: 263C3A84
	v_lshlrev_b32_e32 v30, 1, v30                              // 0000000046F4: 243C3C81
	v_add_u32_e32 v13, v30, v13                                // 0000000046F8: 681A1B1E
	v_lshrrev_b32_e32 v29, 3, v28                              // 0000000046FC: 203A3883
	v_and_b32_e32 v30, 1, v29                                  // 000000004700: 263C3A81
	v_lshlrev_b32_e32 v30, 1, v30                              // 000000004704: 243C3C81
	v_add_u32_e32 v13, v30, v13                                // 000000004708: 681A1B1E
	v_and_b32_e32 v30, 2, v29                                  // 00000000470C: 263C3A82
	v_lshrrev_b32_e32 v30, 1, v30                              // 000000004710: 203C3C81
	v_add_u32_e32 v13, v30, v13                                // 000000004714: 681A1B1E
	s_and_b32 s60, 1, s46                                      // 000000004718: 863C2E81
	s_mul_i32 s60, s60, 64                                     // 00000000471C: 923CC03C
	s_lshr_b32 s61, s46, 1                                     // 000000004720: 8F3D812E
	s_mul_i32 s61, s61, 0x220                                  // 000000004724: 923DFF3D 00000220
	s_add_u32 s60, s60, s61                                    // 00000000472C: 803C3D3C
	v_add_u32_e32 v13, s60, v13                                // 000000004730: 681A1A3C
	v_lshlrev_b32_e32 v13, 2, v13                              // 000000004734: 241A1A82
	v_and_b32_e32 v28, 15, v0                                  // 000000004738: 2638008F
	v_and_b32_e32 v30, 1, v28                                  // 00000000473C: 263C3881
	v_mul_i32_i24_e32 v12, 0x108, v30                          // 000000004740: 0C183CFF 00000108
	v_and_b32_e32 v30, 2, v28                                  // 000000004748: 263C3882
	v_lshlrev_b32_e32 v30, 1, v30                              // 00000000474C: 243C3C81
	v_add_u32_e32 v12, v30, v12                                // 000000004750: 6818191E
	v_and_b32_e32 v30, 4, v28                                  // 000000004754: 263C3884
	v_lshlrev_b32_e32 v30, 2, v30                              // 000000004758: 243C3C82
	v_add_u32_e32 v12, v30, v12                                // 00000000475C: 6818191E
	v_and_b32_e32 v30, 8, v28                                  // 000000004760: 263C3888
	v_add_u32_e32 v12, v30, v12                                // 000000004764: 6818191E
	v_lshrrev_b32_e32 v28, 4, v0                               // 000000004768: 20380084
	v_and_b32_e32 v30, 1, v28                                  // 00000000476C: 263C3881
	v_lshlrev_b32_e32 v30, 5, v30                              // 000000004770: 243C3C85
	v_add_u32_e32 v12, v30, v12                                // 000000004774: 6818191E
	v_and_b32_e32 v29, 2, v28                                  // 000000004778: 263A3882
	v_mul_i32_i24_e32 v30, 32, v29                             // 00000000477C: 0C3C3AA0
	v_mul_i32_i24_e32 v29, 0x220, v29                          // 000000004780: 0C3A3AFF 00000220
	v_add_u32_e32 v23, v29, v12                                // 000000004788: 682E191D
	v_add_u32_e32 v12, v30, v12                                // 00000000478C: 6818191E
	v_lshlrev_b32_e32 v12, 2, v12                              // 000000004790: 24181882
	v_lshlrev_b32_e32 v23, 2, v23                              // 000000004794: 242E2E82
	s_and_b32 s60, 1, s46                                      // 000000004798: 863C2E81
	s_mul_i32 s60, s60, 0x200                                  // 00000000479C: 923CFF3C 00000200
	s_lshr_b32 s61, s46, 1                                     // 0000000047A4: 8F3D812E
	s_mul_i32 s61, s61, 0x880                                  // 0000000047A8: 923DFF3D 00000880
	s_add_u32 s60, s60, s61                                    // 0000000047B0: 803C3D3C
	v_add_u32_e32 v23, s60, v23                                // 0000000047B4: 682E2E3C
	v_lshrrev_b32_e32 v28, 4, v0                               // 0000000047B8: 20380084
	v_mul_i32_i24_e32 v21, 4, v28                              // 0000000047BC: 0C2A3884
	v_and_b32_e32 v29, 3, v0                                   // 0000000047C0: 263A0083
	v_add_u32_e32 v21, v29, v21                                // 0000000047C4: 682A2B1D
	v_lshlrev_b32_e32 v21, 2, v21                              // 0000000047C8: 242A2A82
	v_lshrrev_b32_e32 v28, 4, v0                               // 0000000047CC: 20380084
	v_and_b32_e32 v29, 1, v28                                  // 0000000047D0: 263A3881
	v_mul_i32_i24_e32 v19, 0x100, v29                          // 0000000047D4: 0C263AFF 00000100
	v_and_b32_e32 v29, 2, v28                                  // 0000000047DC: 263A3882
	v_mul_i32_i24_e32 v29, 64, v29                             // 0000000047E0: 0C3A3AC0
	v_add_u32_e32 v19, v29, v19                                // 0000000047E4: 6826271D
	v_and_b32_e32 v28, 15, v0                                  // 0000000047E8: 2638008F
	v_mul_i32_i24_e32 v29, 2, v28                              // 0000000047EC: 0C3A3882
	v_add_u32_e32 v19, v29, v19                                // 0000000047F0: 6826271D
	s_mul_i32 s60, s46, 32                                     // 0000000047F4: 923CA02E
	v_add_u32_e32 v19, s60, v19                                // 0000000047F8: 6826263C
	v_lshlrev_b32_e32 v19, 2, v19                              // 0000000047FC: 24262682
	v_lshlrev_b32_e32 v20, 1, v0                               // 000000004800: 24280081
	s_mul_i32 s60, s46, 0x200                                  // 000000004804: 923CFF2E 00000200
	v_add_u32_e32 v20, s60, v20                                // 00000000480C: 6828283C
	v_lshlrev_b32_e32 v20, 2, v20                              // 000000004810: 24282882
	v_lshrrev_b32_e32 v28, 5, v0                               // 000000004814: 20380085
	v_mul_i32_i24_e32 v17, 64, v28                             // 000000004818: 0C2238C0
	v_and_b32_e32 v28, 31, v0                                  // 00000000481C: 2638009F
	v_and_b32_e32 v28, 3, v28                                  // 000000004820: 26383883
	v_and_b32_e32 v29, 1, v28                                  // 000000004824: 263A3881
	v_mul_i32_i24_e32 v29, 4, v29                              // 000000004828: 0C3A3A84
	v_add_u32_e32 v17, v29, v17                                // 00000000482C: 6822231D
	v_and_b32_e32 v29, 2, v28                                  // 000000004830: 263A3882
	v_mul_i32_i24_e32 v29, 0x44, v29                           // 000000004834: 0C3A3AFF 00000044
	v_add_u32_e32 v17, v29, v17                                // 00000000483C: 6822231D
	v_and_b32_e32 v28, 31, v0                                  // 000000004840: 2638009F
	v_lshrrev_b32_e32 v28, 2, v28                              // 000000004844: 20383882
	v_lshrrev_b32_e32 v30, 2, v28                              // 000000004848: 203C3882
	v_mul_i32_i24_e32 v29, 16, v30                             // 00000000484C: 0C3A3C90
	v_add_u32_e32 v17, v29, v17                                // 000000004850: 6822231D
	v_and_b32_e32 v29, 2, v28                                  // 000000004854: 263A3882
	v_lshlrev_b32_e32 v29, 4, v29                              // 000000004858: 243A3A84
	v_add_u32_e32 v17, v29, v17                                // 00000000485C: 6822231D
	v_and_b32_e32 v29, 1, v28                                  // 000000004860: 263A3881
	v_xor_b32_e32 v29, v30, v29                                // 000000004864: 2A3A3B1E
	v_mul_i32_i24_e32 v29, 8, v29                              // 000000004868: 0C3A3A88
	v_add_u32_e32 v17, v29, v17                                // 00000000486C: 6822231D
	v_lshlrev_b32_e32 v17, 2, v17                              // 000000004870: 24222282
	v_lshrrev_b32_e32 v28, 5, v0                               // 000000004874: 20380085
	v_mul_i32_i24_e32 v18, 32, v28                             // 000000004878: 0C2438A0
	v_and_b32_e32 v28, 31, v0                                  // 00000000487C: 2638009F
	v_and_b32_e32 v28, 3, v28                                  // 000000004880: 26383883
	v_and_b32_e32 v29, 1, v28                                  // 000000004884: 263A3881
	v_mul_i32_i24_e32 v29, 4, v29                              // 000000004888: 0C3A3A84
	v_add_u32_e32 v18, v29, v18                                // 00000000488C: 6824251D
	v_and_b32_e32 v29, 2, v28                                  // 000000004890: 263A3882
	v_lshrrev_b32_e32 v29, 1, v29                              // 000000004894: 203A3A81
	v_add_u32_e32 v18, v29, v18                                // 000000004898: 6824251D
	v_and_b32_e32 v28, 31, v0                                  // 00000000489C: 2638009F
	v_lshrrev_b32_e32 v28, 2, v28                              // 0000000048A0: 20383882
	v_and_b32_e32 v30, 1, v28                                  // 0000000048A4: 263C3881
	v_mul_i32_i24_e32 v29, 16, v30                             // 0000000048A8: 0C3A3C90
	v_add_u32_e32 v18, v29, v18                                // 0000000048AC: 6824251D
	v_and_b32_e32 v29, 2, v28                                  // 0000000048B0: 263A3882
	v_add_u32_e32 v18, v29, v18                                // 0000000048B4: 6824251D
	v_lshrrev_b32_e32 v29, 2, v28                              // 0000000048B8: 203A3882
	v_xor_b32_e32 v29, v30, v29                                // 0000000048BC: 2A3A3B1E
	v_mul_i32_i24_e32 v29, 8, v29                              // 0000000048C0: 0C3A3A88
	v_add_u32_e32 v18, v29, v18                                // 0000000048C4: 6824251D
	s_and_b32 s60, 1, s46                                      // 0000000048C8: 863C2E81
	s_mul_i32 s60, s60, 64                                     // 0000000048CC: 923CC03C
	s_lshr_b32 s61, s46, 1                                     // 0000000048D0: 8F3D812E
	s_mul_i32 s61, s61, 0x120                                  // 0000000048D4: 923DFF3D 00000120
	s_add_u32 s60, s60, s61                                    // 0000000048DC: 803C3D3C
	v_add_u32_e32 v18, s60, v18                                // 0000000048E0: 6824243C
	v_lshlrev_b32_e32 v18, 2, v18                              // 0000000048E4: 24242482
	v_mov_b32_e32 v152, 0                                      // 0000000048E8: 7F300280
	s_mov_b64 exec, s[80:81]                                   // 0000000048EC: BEFE0150
	buffer_load_dword v152, v1, s[12:15], 0 idxen              // 0000000048F0: E0502000 80039801
	s_mov_b32 exec_lo, -1                                      // 0000000048F8: BEFE00C1
	s_mov_b32 exec_hi, -1                                      // 0000000048FC: BEFF00C1
	v_mov_b32_e32 v153, 0                                      // 000000004900: 7F320280
	s_mov_b64 exec, s[80:81]                                   // 000000004904: BEFE0150
	buffer_load_dword v153, v2, s[12:15], 0 idxen              // 000000004908: E0502000 80039902
	s_mov_b32 exec_lo, -1                                      // 000000004910: BEFE00C1
	s_mov_b32 exec_hi, -1                                      // 000000004914: BEFF00C1
	v_mov_b32_e32 v154, 0                                      // 000000004918: 7F340280
	s_mov_b64 exec, s[80:81]                                   // 00000000491C: BEFE0150
	buffer_load_dword v154, v3, s[12:15], 0 idxen              // 000000004920: E0502000 80039A03
	s_mov_b32 exec_lo, -1                                      // 000000004928: BEFE00C1
	s_mov_b32 exec_hi, -1                                      // 00000000492C: BEFF00C1
	v_mov_b32_e32 v155, 0                                      // 000000004930: 7F360280
	s_mov_b64 exec, s[80:81]                                   // 000000004934: BEFE0150
	buffer_load_dword v155, v4, s[12:15], 0 idxen              // 000000004938: E0502000 80039B04
	s_mov_b32 exec_lo, -1                                      // 000000004940: BEFE00C1
	s_mov_b32 exec_hi, -1                                      // 000000004944: BEFF00C1
	s_mul_i32 s60, 4, s6                                       // 000000004948: 923C0684
	s_cmp_lt_i32 0, s72                                        // 00000000494C: BF044880
	s_cselect_b32 s60, s60, 0                                  // 000000004950: 853C803C
	v_add_u32_e32 v1, s60, v1                                  // 000000004954: 6802023C
	v_add_u32_e32 v2, s60, v2                                  // 000000004958: 6804043C
	v_add_u32_e32 v3, s60, v3                                  // 00000000495C: 6806063C
	v_add_u32_e32 v4, s60, v4                                  // 000000004960: 6808083C
	v_mov_b32_e32 v156, 0                                      // 000000004964: 7F380280
	s_mov_b64 exec, s[80:81]                                   // 000000004968: BEFE0150
	buffer_load_dword v156, v1, s[12:15], 0 idxen              // 00000000496C: E0502000 80039C01
	s_mov_b32 exec_lo, -1                                      // 000000004974: BEFE00C1
	s_mov_b32 exec_hi, -1                                      // 000000004978: BEFF00C1
	v_mov_b32_e32 v157, 0                                      // 00000000497C: 7F3A0280
	s_mov_b64 exec, s[80:81]                                   // 000000004980: BEFE0150
	buffer_load_dword v157, v2, s[12:15], 0 idxen              // 000000004984: E0502000 80039D02
	s_mov_b32 exec_lo, -1                                      // 00000000498C: BEFE00C1
	s_mov_b32 exec_hi, -1                                      // 000000004990: BEFF00C1
	v_mov_b32_e32 v158, 0                                      // 000000004994: 7F3C0280
	s_mov_b64 exec, s[80:81]                                   // 000000004998: BEFE0150
	buffer_load_dword v158, v3, s[12:15], 0 idxen              // 00000000499C: E0502000 80039E03
	s_mov_b32 exec_lo, -1                                      // 0000000049A4: BEFE00C1
	s_mov_b32 exec_hi, -1                                      // 0000000049A8: BEFF00C1
	v_mov_b32_e32 v159, 0                                      // 0000000049AC: 7F3E0280
	s_mov_b64 exec, s[80:81]                                   // 0000000049B0: BEFE0150
	buffer_load_dword v159, v4, s[12:15], 0 idxen              // 0000000049B4: E0502000 80039F04
	s_mov_b32 exec_lo, -1                                      // 0000000049BC: BEFE00C1
	s_mov_b32 exec_hi, -1                                      // 0000000049C0: BEFF00C1
	s_mul_i32 s60, 4, s6                                       // 0000000049C4: 923C0684
	s_cmp_lt_i32 0, s72                                        // 0000000049C8: BF044880
	s_cselect_b32 s60, s60, 0                                  // 0000000049CC: 853C803C
	v_add_u32_e32 v1, s60, v1                                  // 0000000049D0: 6802023C
	v_add_u32_e32 v2, s60, v2                                  // 0000000049D4: 6804043C
	v_add_u32_e32 v3, s60, v3                                  // 0000000049D8: 6806063C
	v_add_u32_e32 v4, s60, v4                                  // 0000000049DC: 6808083C
	v_mov_b32_e32 v160, 0                                      // 0000000049E0: 7F400280
	s_mov_b64 exec, s[80:81]                                   // 0000000049E4: BEFE0150
	buffer_load_dword v160, v1, s[12:15], 0 idxen              // 0000000049E8: E0502000 8003A001
	s_mov_b32 exec_lo, -1                                      // 0000000049F0: BEFE00C1
	s_mov_b32 exec_hi, -1                                      // 0000000049F4: BEFF00C1
	v_mov_b32_e32 v161, 0                                      // 0000000049F8: 7F420280
	s_mov_b64 exec, s[80:81]                                   // 0000000049FC: BEFE0150
	buffer_load_dword v161, v2, s[12:15], 0 idxen              // 000000004A00: E0502000 8003A102
	s_mov_b32 exec_lo, -1                                      // 000000004A08: BEFE00C1
	s_mov_b32 exec_hi, -1                                      // 000000004A0C: BEFF00C1
	v_mov_b32_e32 v162, 0                                      // 000000004A10: 7F440280
	s_mov_b64 exec, s[80:81]                                   // 000000004A14: BEFE0150
	buffer_load_dword v162, v3, s[12:15], 0 idxen              // 000000004A18: E0502000 8003A203
	s_mov_b32 exec_lo, -1                                      // 000000004A20: BEFE00C1
	s_mov_b32 exec_hi, -1                                      // 000000004A24: BEFF00C1
	v_mov_b32_e32 v163, 0                                      // 000000004A28: 7F460280
	s_mov_b64 exec, s[80:81]                                   // 000000004A2C: BEFE0150
	buffer_load_dword v163, v4, s[12:15], 0 idxen              // 000000004A30: E0502000 8003A304
	s_mov_b32 exec_lo, -1                                      // 000000004A38: BEFE00C1
	s_mov_b32 exec_hi, -1                                      // 000000004A3C: BEFF00C1
	s_mul_i32 s60, 4, s6                                       // 000000004A40: 923C0684
	s_cmp_lt_i32 0, s72                                        // 000000004A44: BF044880
	s_cselect_b32 s60, s60, 0                                  // 000000004A48: 853C803C
	v_add_u32_e32 v1, s60, v1                                  // 000000004A4C: 6802023C
	v_add_u32_e32 v2, s60, v2                                  // 000000004A50: 6804043C
	v_add_u32_e32 v3, s60, v3                                  // 000000004A54: 6806063C
	v_add_u32_e32 v4, s60, v4                                  // 000000004A58: 6808083C
	v_mov_b32_e32 v164, 0                                      // 000000004A5C: 7F480280
	s_mov_b64 exec, s[80:81]                                   // 000000004A60: BEFE0150
	buffer_load_dword v164, v1, s[12:15], 0 idxen              // 000000004A64: E0502000 8003A401
	s_mov_b32 exec_lo, -1                                      // 000000004A6C: BEFE00C1
	s_mov_b32 exec_hi, -1                                      // 000000004A70: BEFF00C1
	v_mov_b32_e32 v165, 0                                      // 000000004A74: 7F4A0280
	s_mov_b64 exec, s[80:81]                                   // 000000004A78: BEFE0150
	buffer_load_dword v165, v2, s[12:15], 0 idxen              // 000000004A7C: E0502000 8003A502
	s_mov_b32 exec_lo, -1                                      // 000000004A84: BEFE00C1
	s_mov_b32 exec_hi, -1                                      // 000000004A88: BEFF00C1
	v_mov_b32_e32 v166, 0                                      // 000000004A8C: 7F4C0280
	s_mov_b64 exec, s[80:81]                                   // 000000004A90: BEFE0150
	buffer_load_dword v166, v3, s[12:15], 0 idxen              // 000000004A94: E0502000 8003A603
	s_mov_b32 exec_lo, -1                                      // 000000004A9C: BEFE00C1
	s_mov_b32 exec_hi, -1                                      // 000000004AA0: BEFF00C1
	v_mov_b32_e32 v167, 0                                      // 000000004AA4: 7F4E0280
	s_mov_b64 exec, s[80:81]                                   // 000000004AA8: BEFE0150
	buffer_load_dword v167, v4, s[12:15], 0 idxen              // 000000004AAC: E0502000 8003A704
	s_mov_b32 exec_lo, -1                                      // 000000004AB4: BEFE00C1
	s_mov_b32 exec_hi, -1                                      // 000000004AB8: BEFF00C1
	s_mul_i32 s60, 4, s6                                       // 000000004ABC: 923C0684
	s_cmp_lt_i32 1, s72                                        // 000000004AC0: BF044881
	s_cselect_b32 s60, s60, 0                                  // 000000004AC4: 853C803C
	v_add_u32_e32 v1, s60, v1                                  // 000000004AC8: 6802023C
	v_add_u32_e32 v2, s60, v2                                  // 000000004ACC: 6804043C
	v_add_u32_e32 v3, s60, v3                                  // 000000004AD0: 6806063C
	v_add_u32_e32 v4, s60, v4                                  // 000000004AD4: 6808083C
	v_mov_b32_e32 v168, 0                                      // 000000004AD8: 7F500280
	s_mov_b64 exec, s[80:81]                                   // 000000004ADC: BEFE0150
	buffer_load_dword v168, v1, s[12:15], 0 idxen              // 000000004AE0: E0502000 8003A801
	s_mov_b32 exec_lo, -1                                      // 000000004AE8: BEFE00C1
	s_mov_b32 exec_hi, -1                                      // 000000004AEC: BEFF00C1
	v_mov_b32_e32 v169, 0                                      // 000000004AF0: 7F520280
	s_mov_b64 exec, s[80:81]                                   // 000000004AF4: BEFE0150
	buffer_load_dword v169, v2, s[12:15], 0 idxen              // 000000004AF8: E0502000 8003A902
	s_mov_b32 exec_lo, -1                                      // 000000004B00: BEFE00C1
	s_mov_b32 exec_hi, -1                                      // 000000004B04: BEFF00C1
	v_mov_b32_e32 v170, 0                                      // 000000004B08: 7F540280
	s_mov_b64 exec, s[80:81]                                   // 000000004B0C: BEFE0150
	buffer_load_dword v170, v3, s[12:15], 0 idxen              // 000000004B10: E0502000 8003AA03
	s_mov_b32 exec_lo, -1                                      // 000000004B18: BEFE00C1
	s_mov_b32 exec_hi, -1                                      // 000000004B1C: BEFF00C1
	v_mov_b32_e32 v171, 0                                      // 000000004B20: 7F560280
	s_mov_b64 exec, s[80:81]                                   // 000000004B24: BEFE0150
	buffer_load_dword v171, v4, s[12:15], 0 idxen              // 000000004B28: E0502000 8003AB04
	s_mov_b32 exec_lo, -1                                      // 000000004B30: BEFE00C1
	s_mov_b32 exec_hi, -1                                      // 000000004B34: BEFF00C1
	s_mul_i32 s60, 4, s6                                       // 000000004B38: 923C0684
	s_cmp_lt_i32 1, s72                                        // 000000004B3C: BF044881
	s_cselect_b32 s60, s60, 0                                  // 000000004B40: 853C803C
	v_add_u32_e32 v1, s60, v1                                  // 000000004B44: 6802023C
	v_add_u32_e32 v2, s60, v2                                  // 000000004B48: 6804043C
	v_add_u32_e32 v3, s60, v3                                  // 000000004B4C: 6806063C
	v_add_u32_e32 v4, s60, v4                                  // 000000004B50: 6808083C
	v_mov_b32_e32 v172, 0                                      // 000000004B54: 7F580280
	s_mov_b64 exec, s[80:81]                                   // 000000004B58: BEFE0150
	buffer_load_dword v172, v1, s[12:15], 0 idxen              // 000000004B5C: E0502000 8003AC01
	s_mov_b32 exec_lo, -1                                      // 000000004B64: BEFE00C1
	s_mov_b32 exec_hi, -1                                      // 000000004B68: BEFF00C1
	v_mov_b32_e32 v173, 0                                      // 000000004B6C: 7F5A0280
	s_mov_b64 exec, s[80:81]                                   // 000000004B70: BEFE0150
	buffer_load_dword v173, v2, s[12:15], 0 idxen              // 000000004B74: E0502000 8003AD02
	s_mov_b32 exec_lo, -1                                      // 000000004B7C: BEFE00C1
	s_mov_b32 exec_hi, -1                                      // 000000004B80: BEFF00C1
	v_mov_b32_e32 v174, 0                                      // 000000004B84: 7F5C0280
	s_mov_b64 exec, s[80:81]                                   // 000000004B88: BEFE0150
	buffer_load_dword v174, v3, s[12:15], 0 idxen              // 000000004B8C: E0502000 8003AE03
	s_mov_b32 exec_lo, -1                                      // 000000004B94: BEFE00C1
	s_mov_b32 exec_hi, -1                                      // 000000004B98: BEFF00C1
	v_mov_b32_e32 v175, 0                                      // 000000004B9C: 7F5E0280
	s_mov_b64 exec, s[80:81]                                   // 000000004BA0: BEFE0150
	buffer_load_dword v175, v4, s[12:15], 0 idxen              // 000000004BA4: E0502000 8003AF04
	s_mov_b32 exec_lo, -1                                      // 000000004BAC: BEFE00C1
	s_mov_b32 exec_hi, -1                                      // 000000004BB0: BEFF00C1
	s_mul_i32 s60, 4, s6                                       // 000000004BB4: 923C0684
	s_cmp_lt_i32 1, s72                                        // 000000004BB8: BF044881
	s_cselect_b32 s60, s60, 0                                  // 000000004BBC: 853C803C
	v_add_u32_e32 v1, s60, v1                                  // 000000004BC0: 6802023C
	v_add_u32_e32 v2, s60, v2                                  // 000000004BC4: 6804043C
	v_add_u32_e32 v3, s60, v3                                  // 000000004BC8: 6806063C
	v_add_u32_e32 v4, s60, v4                                  // 000000004BCC: 6808083C
	v_mov_b32_e32 v176, 0                                      // 000000004BD0: 7F600280
	s_mov_b64 exec, s[80:81]                                   // 000000004BD4: BEFE0150
	buffer_load_dword v176, v1, s[12:15], 0 idxen              // 000000004BD8: E0502000 8003B001
	s_mov_b32 exec_lo, -1                                      // 000000004BE0: BEFE00C1
	s_mov_b32 exec_hi, -1                                      // 000000004BE4: BEFF00C1
	v_mov_b32_e32 v177, 0                                      // 000000004BE8: 7F620280
	s_mov_b64 exec, s[80:81]                                   // 000000004BEC: BEFE0150
	buffer_load_dword v177, v2, s[12:15], 0 idxen              // 000000004BF0: E0502000 8003B102
	s_mov_b32 exec_lo, -1                                      // 000000004BF8: BEFE00C1
	s_mov_b32 exec_hi, -1                                      // 000000004BFC: BEFF00C1
	v_mov_b32_e32 v178, 0                                      // 000000004C00: 7F640280
	s_mov_b64 exec, s[80:81]                                   // 000000004C04: BEFE0150
	buffer_load_dword v178, v3, s[12:15], 0 idxen              // 000000004C08: E0502000 8003B203
	s_mov_b32 exec_lo, -1                                      // 000000004C10: BEFE00C1
	s_mov_b32 exec_hi, -1                                      // 000000004C14: BEFF00C1
	v_mov_b32_e32 v179, 0                                      // 000000004C18: 7F660280
	s_mov_b64 exec, s[80:81]                                   // 000000004C1C: BEFE0150
	buffer_load_dword v179, v4, s[12:15], 0 idxen              // 000000004C20: E0502000 8003B304
	s_mov_b32 exec_lo, -1                                      // 000000004C28: BEFE00C1
	s_mov_b32 exec_hi, -1                                      // 000000004C2C: BEFF00C1
	s_mul_i32 s60, 4, s6                                       // 000000004C30: 923C0684
	s_cmp_lt_i32 1, s72                                        // 000000004C34: BF044881
	s_cselect_b32 s60, s60, 0                                  // 000000004C38: 853C803C
	v_add_u32_e32 v1, s60, v1                                  // 000000004C3C: 6802023C
	v_add_u32_e32 v2, s60, v2                                  // 000000004C40: 6804043C
	v_add_u32_e32 v3, s60, v3                                  // 000000004C44: 6806063C
	v_add_u32_e32 v4, s60, v4                                  // 000000004C48: 6808083C
	v_mov_b32_e32 v180, 0                                      // 000000004C4C: 7F680280
	s_mov_b64 exec, s[80:81]                                   // 000000004C50: BEFE0150
	buffer_load_dword v180, v1, s[12:15], 0 idxen              // 000000004C54: E0502000 8003B401
	s_mov_b32 exec_lo, -1                                      // 000000004C5C: BEFE00C1
	s_mov_b32 exec_hi, -1                                      // 000000004C60: BEFF00C1
	v_mov_b32_e32 v181, 0                                      // 000000004C64: 7F6A0280
	s_mov_b64 exec, s[80:81]                                   // 000000004C68: BEFE0150
	buffer_load_dword v181, v2, s[12:15], 0 idxen              // 000000004C6C: E0502000 8003B502
	s_mov_b32 exec_lo, -1                                      // 000000004C74: BEFE00C1
	s_mov_b32 exec_hi, -1                                      // 000000004C78: BEFF00C1
	v_mov_b32_e32 v182, 0                                      // 000000004C7C: 7F6C0280
	s_mov_b64 exec, s[80:81]                                   // 000000004C80: BEFE0150
	buffer_load_dword v182, v3, s[12:15], 0 idxen              // 000000004C84: E0502000 8003B603
	s_mov_b32 exec_lo, -1                                      // 000000004C8C: BEFE00C1
	s_mov_b32 exec_hi, -1                                      // 000000004C90: BEFF00C1
	v_mov_b32_e32 v183, 0                                      // 000000004C94: 7F6E0280
	s_mov_b64 exec, s[80:81]                                   // 000000004C98: BEFE0150
	buffer_load_dword v183, v4, s[12:15], 0 idxen              // 000000004C9C: E0502000 8003B704
	s_mov_b32 exec_lo, -1                                      // 000000004CA4: BEFE00C1
	s_mov_b32 exec_hi, -1                                      // 000000004CA8: BEFF00C1
	s_mul_i32 s60, 4, s6                                       // 000000004CAC: 923C0684
	s_cmp_lt_i32 2, s72                                        // 000000004CB0: BF044882
	s_cselect_b32 s60, s60, 0                                  // 000000004CB4: 853C803C
	v_add_u32_e32 v1, s60, v1                                  // 000000004CB8: 6802023C
	v_add_u32_e32 v2, s60, v2                                  // 000000004CBC: 6804043C
	v_add_u32_e32 v3, s60, v3                                  // 000000004CC0: 6806063C
	v_add_u32_e32 v4, s60, v4                                  // 000000004CC4: 6808083C
	v_mov_b32_e32 v184, 0                                      // 000000004CC8: 7F700280
	s_mov_b64 exec, s[80:81]                                   // 000000004CCC: BEFE0150
	buffer_load_dword v184, v1, s[12:15], 0 idxen              // 000000004CD0: E0502000 8003B801
	s_mov_b32 exec_lo, -1                                      // 000000004CD8: BEFE00C1
	s_mov_b32 exec_hi, -1                                      // 000000004CDC: BEFF00C1
	v_mov_b32_e32 v185, 0                                      // 000000004CE0: 7F720280
	s_mov_b64 exec, s[80:81]                                   // 000000004CE4: BEFE0150
	buffer_load_dword v185, v2, s[12:15], 0 idxen              // 000000004CE8: E0502000 8003B902
	s_mov_b32 exec_lo, -1                                      // 000000004CF0: BEFE00C1
	s_mov_b32 exec_hi, -1                                      // 000000004CF4: BEFF00C1
	v_mov_b32_e32 v186, 0                                      // 000000004CF8: 7F740280
	s_mov_b64 exec, s[80:81]                                   // 000000004CFC: BEFE0150
	buffer_load_dword v186, v3, s[12:15], 0 idxen              // 000000004D00: E0502000 8003BA03
	s_mov_b32 exec_lo, -1                                      // 000000004D08: BEFE00C1
	s_mov_b32 exec_hi, -1                                      // 000000004D0C: BEFF00C1
	v_mov_b32_e32 v187, 0                                      // 000000004D10: 7F760280
	s_mov_b64 exec, s[80:81]                                   // 000000004D14: BEFE0150
	buffer_load_dword v187, v4, s[12:15], 0 idxen              // 000000004D18: E0502000 8003BB04
	s_mov_b32 exec_lo, -1                                      // 000000004D20: BEFE00C1
	s_mov_b32 exec_hi, -1                                      // 000000004D24: BEFF00C1
	s_mul_i32 s60, 4, s6                                       // 000000004D28: 923C0684
	s_cmp_lt_i32 2, s72                                        // 000000004D2C: BF044882
	s_cselect_b32 s60, s60, 0                                  // 000000004D30: 853C803C
	v_add_u32_e32 v1, s60, v1                                  // 000000004D34: 6802023C
	v_add_u32_e32 v2, s60, v2                                  // 000000004D38: 6804043C
	v_add_u32_e32 v3, s60, v3                                  // 000000004D3C: 6806063C
	v_add_u32_e32 v4, s60, v4                                  // 000000004D40: 6808083C
	v_mov_b32_e32 v188, 0                                      // 000000004D44: 7F780280
	s_mov_b64 exec, s[80:81]                                   // 000000004D48: BEFE0150
	buffer_load_dword v188, v1, s[12:15], 0 idxen              // 000000004D4C: E0502000 8003BC01
	s_mov_b32 exec_lo, -1                                      // 000000004D54: BEFE00C1
	s_mov_b32 exec_hi, -1                                      // 000000004D58: BEFF00C1
	v_mov_b32_e32 v189, 0                                      // 000000004D5C: 7F7A0280
	s_mov_b64 exec, s[80:81]                                   // 000000004D60: BEFE0150
	buffer_load_dword v189, v2, s[12:15], 0 idxen              // 000000004D64: E0502000 8003BD02
	s_mov_b32 exec_lo, -1                                      // 000000004D6C: BEFE00C1
	s_mov_b32 exec_hi, -1                                      // 000000004D70: BEFF00C1
	v_mov_b32_e32 v190, 0                                      // 000000004D74: 7F7C0280
	s_mov_b64 exec, s[80:81]                                   // 000000004D78: BEFE0150
	buffer_load_dword v190, v3, s[12:15], 0 idxen              // 000000004D7C: E0502000 8003BE03
	s_mov_b32 exec_lo, -1                                      // 000000004D84: BEFE00C1
	s_mov_b32 exec_hi, -1                                      // 000000004D88: BEFF00C1
	v_mov_b32_e32 v191, 0                                      // 000000004D8C: 7F7E0280
	s_mov_b64 exec, s[80:81]                                   // 000000004D90: BEFE0150
	buffer_load_dword v191, v4, s[12:15], 0 idxen              // 000000004D94: E0502000 8003BF04
	s_mov_b32 exec_lo, -1                                      // 000000004D9C: BEFE00C1
	s_mov_b32 exec_hi, -1                                      // 000000004DA0: BEFF00C1
	s_mul_i32 s60, 4, s6                                       // 000000004DA4: 923C0684
	s_cmp_lt_i32 2, s72                                        // 000000004DA8: BF044882
	s_cselect_b32 s60, s60, 0                                  // 000000004DAC: 853C803C
	v_add_u32_e32 v1, s60, v1                                  // 000000004DB0: 6802023C
	v_add_u32_e32 v2, s60, v2                                  // 000000004DB4: 6804043C
	v_add_u32_e32 v3, s60, v3                                  // 000000004DB8: 6806063C
	v_add_u32_e32 v4, s60, v4                                  // 000000004DBC: 6808083C
	v_mov_b32_e32 v192, 0                                      // 000000004DC0: 7F800280
	s_mov_b64 exec, s[80:81]                                   // 000000004DC4: BEFE0150
	buffer_load_dword v192, v1, s[12:15], 0 idxen              // 000000004DC8: E0502000 8003C001
	s_mov_b32 exec_lo, -1                                      // 000000004DD0: BEFE00C1
	s_mov_b32 exec_hi, -1                                      // 000000004DD4: BEFF00C1
	v_mov_b32_e32 v193, 0                                      // 000000004DD8: 7F820280
	s_mov_b64 exec, s[80:81]                                   // 000000004DDC: BEFE0150
	buffer_load_dword v193, v2, s[12:15], 0 idxen              // 000000004DE0: E0502000 8003C102
	s_mov_b32 exec_lo, -1                                      // 000000004DE8: BEFE00C1
	s_mov_b32 exec_hi, -1                                      // 000000004DEC: BEFF00C1
	v_mov_b32_e32 v194, 0                                      // 000000004DF0: 7F840280
	s_mov_b64 exec, s[80:81]                                   // 000000004DF4: BEFE0150
	buffer_load_dword v194, v3, s[12:15], 0 idxen              // 000000004DF8: E0502000 8003C203
	s_mov_b32 exec_lo, -1                                      // 000000004E00: BEFE00C1
	s_mov_b32 exec_hi, -1                                      // 000000004E04: BEFF00C1
	v_mov_b32_e32 v195, 0                                      // 000000004E08: 7F860280
	s_mov_b64 exec, s[80:81]                                   // 000000004E0C: BEFE0150
	buffer_load_dword v195, v4, s[12:15], 0 idxen              // 000000004E10: E0502000 8003C304
	s_mov_b32 exec_lo, -1                                      // 000000004E18: BEFE00C1
	s_mov_b32 exec_hi, -1                                      // 000000004E1C: BEFF00C1
	s_mul_i32 s60, 4, s6                                       // 000000004E20: 923C0684
	s_cmp_lt_i32 2, s72                                        // 000000004E24: BF044882
	s_cselect_b32 s60, s60, 0                                  // 000000004E28: 853C803C
	v_add_u32_e32 v1, s60, v1                                  // 000000004E2C: 6802023C
	v_add_u32_e32 v2, s60, v2                                  // 000000004E30: 6804043C
	v_add_u32_e32 v3, s60, v3                                  // 000000004E34: 6806063C
	v_add_u32_e32 v4, s60, v4                                  // 000000004E38: 6808083C
	v_mov_b32_e32 v196, 0                                      // 000000004E3C: 7F880280
	s_mov_b64 exec, s[80:81]                                   // 000000004E40: BEFE0150
	buffer_load_dword v196, v1, s[12:15], 0 idxen              // 000000004E44: E0502000 8003C401
	s_mov_b32 exec_lo, -1                                      // 000000004E4C: BEFE00C1
	s_mov_b32 exec_hi, -1                                      // 000000004E50: BEFF00C1
	v_mov_b32_e32 v197, 0                                      // 000000004E54: 7F8A0280
	s_mov_b64 exec, s[80:81]                                   // 000000004E58: BEFE0150
	buffer_load_dword v197, v2, s[12:15], 0 idxen              // 000000004E5C: E0502000 8003C502
	s_mov_b32 exec_lo, -1                                      // 000000004E64: BEFE00C1
	s_mov_b32 exec_hi, -1                                      // 000000004E68: BEFF00C1
	v_mov_b32_e32 v198, 0                                      // 000000004E6C: 7F8C0280
	s_mov_b64 exec, s[80:81]                                   // 000000004E70: BEFE0150
	buffer_load_dword v198, v3, s[12:15], 0 idxen              // 000000004E74: E0502000 8003C603
	s_mov_b32 exec_lo, -1                                      // 000000004E7C: BEFE00C1
	s_mov_b32 exec_hi, -1                                      // 000000004E80: BEFF00C1
	v_mov_b32_e32 v199, 0                                      // 000000004E84: 7F8E0280
	s_mov_b64 exec, s[80:81]                                   // 000000004E88: BEFE0150
	buffer_load_dword v199, v4, s[12:15], 0 idxen              // 000000004E8C: E0502000 8003C704
	s_mov_b32 exec_lo, -1                                      // 000000004E94: BEFE00C1
	s_mov_b32 exec_hi, -1                                      // 000000004E98: BEFF00C1
	s_mul_i32 s60, 4, s6                                       // 000000004E9C: 923C0684
	s_cmp_lt_i32 3, s72                                        // 000000004EA0: BF044883
	s_cselect_b32 s60, s60, 0                                  // 000000004EA4: 853C803C
	v_add_u32_e32 v1, s60, v1                                  // 000000004EA8: 6802023C
	v_add_u32_e32 v2, s60, v2                                  // 000000004EAC: 6804043C
	v_add_u32_e32 v3, s60, v3                                  // 000000004EB0: 6806063C
	v_add_u32_e32 v4, s60, v4                                  // 000000004EB4: 6808083C
	s_waitcnt vmcnt(32) lgkmcnt(0)                             // 000000004EB8: BF8C8070
	s_barrier                                                  // 000000004EBC: BF8A0000
	s_cmp_lt_i32 0, s72                                        // 000000004EC0: BF044880
	s_cbranch_scc1 label_0442                                  // 000000004EC4: BF850010
	v_mov_b32_e32 v152, 0                                      // 000000004EC8: 7F300280
	v_mov_b32_e32 v153, 0                                      // 000000004ECC: 7F320280
	v_mov_b32_e32 v154, 0                                      // 000000004ED0: 7F340280
	v_mov_b32_e32 v155, 0                                      // 000000004ED4: 7F360280
	v_mov_b32_e32 v156, 0                                      // 000000004ED8: 7F380280
	v_mov_b32_e32 v157, 0                                      // 000000004EDC: 7F3A0280
	v_mov_b32_e32 v158, 0                                      // 000000004EE0: 7F3C0280
	v_mov_b32_e32 v159, 0                                      // 000000004EE4: 7F3E0280
	v_mov_b32_e32 v160, 0                                      // 000000004EE8: 7F400280
	v_mov_b32_e32 v161, 0                                      // 000000004EEC: 7F420280
	v_mov_b32_e32 v162, 0                                      // 000000004EF0: 7F440280
	v_mov_b32_e32 v163, 0                                      // 000000004EF4: 7F460280
	v_mov_b32_e32 v164, 0                                      // 000000004EF8: 7F480280
	v_mov_b32_e32 v165, 0                                      // 000000004EFC: 7F4A0280
	v_mov_b32_e32 v166, 0                                      // 000000004F00: 7F4C0280
	v_mov_b32_e32 v167, 0                                      // 000000004F04: 7F4E0280

0000000000004f08 <label_0442>:
	v_perm_b32 v200, v153, v152, s63                           // 000000004F08: D1ED00C8 00FF3199
	v_perm_b32 v201, v153, v152, s64                           // 000000004F10: D1ED00C9 01033199
	v_perm_b32 v202, v155, v154, s63                           // 000000004F18: D1ED00CA 00FF359B
	v_perm_b32 v203, v155, v154, s64                           // 000000004F20: D1ED00CB 0103359B
	v_perm_b32 v204, v157, v156, s63                           // 000000004F28: D1ED00CC 00FF399D
	v_perm_b32 v205, v157, v156, s64                           // 000000004F30: D1ED00CD 0103399D
	v_perm_b32 v206, v159, v158, s63                           // 000000004F38: D1ED00CE 00FF3D9F
	v_perm_b32 v207, v159, v158, s64                           // 000000004F40: D1ED00CF 01033D9F
	v_perm_b32 v208, v161, v160, s63                           // 000000004F48: D1ED00D0 00FF41A1
	v_perm_b32 v209, v161, v160, s64                           // 000000004F50: D1ED00D1 010341A1
	v_perm_b32 v210, v163, v162, s63                           // 000000004F58: D1ED00D2 00FF45A3
	v_perm_b32 v211, v163, v162, s64                           // 000000004F60: D1ED00D3 010345A3
	v_perm_b32 v212, v165, v164, s63                           // 000000004F68: D1ED00D4 00FF49A5
	v_perm_b32 v213, v165, v164, s64                           // 000000004F70: D1ED00D5 010349A5
	v_perm_b32 v214, v167, v166, s63                           // 000000004F78: D1ED00D6 00FF4DA7
	v_perm_b32 v215, v167, v166, s64                           // 000000004F80: D1ED00D7 01034DA7
	ds_write_b32 v13, v200 offset:17408                        // 000000004F88: D81A4400 0000C80D
	ds_write_b32 v13, v201 offset:18464                        // 000000004F90: D81A4820 0000C90D
	ds_write_b32 v13, v202 offset:17536                        // 000000004F98: D81A4480 0000CA0D
	ds_write_b32 v13, v203 offset:18592                        // 000000004FA0: D81A48A0 0000CB0D
	ds_write_b32 v13, v204 offset:21760                        // 000000004FA8: D81A5500 0000CC0D
	ds_write_b32 v13, v205 offset:22816                        // 000000004FB0: D81A5920 0000CD0D
	ds_write_b32 v13, v206 offset:21888                        // 000000004FB8: D81A5580 0000CE0D
	ds_write_b32 v13, v207 offset:22944                        // 000000004FC0: D81A59A0 0000CF0D
	ds_write_b32 v13, v208 offset:26112                        // 000000004FC8: D81A6600 0000D00D
	ds_write_b32 v13, v209 offset:27168                        // 000000004FD0: D81A6A20 0000D10D
	ds_write_b32 v13, v210 offset:26240                        // 000000004FD8: D81A6680 0000D20D
	ds_write_b32 v13, v211 offset:27296                        // 000000004FE0: D81A6AA0 0000D30D
	ds_write_b32 v13, v212 offset:30464                        // 000000004FE8: D81A7700 0000D40D
	ds_write_b32 v13, v213 offset:31520                        // 000000004FF0: D81A7B20 0000D50D
	ds_write_b32 v13, v214 offset:30592                        // 000000004FF8: D81A7780 0000D60D
	ds_write_b32 v13, v215 offset:31648                        // 000000005000: D81A7BA0 0000D70D
	ds_write_b32 v11, v152                                     // 000000005008: D81A0000 0000980B
	ds_write_b32 v11, v153 offset:1056                         // 000000005010: D81A0420 0000990B
	ds_write_b32 v11, v154 offset:128                          // 000000005018: D81A0080 00009A0B
	ds_write_b32 v11, v155 offset:1184                         // 000000005020: D81A04A0 00009B0B
	ds_write_b32 v11, v156 offset:4352                         // 000000005028: D81A1100 00009C0B
	ds_write_b32 v11, v157 offset:5408                         // 000000005030: D81A1520 00009D0B
	ds_write_b32 v11, v158 offset:4480                         // 000000005038: D81A1180 00009E0B
	ds_write_b32 v11, v159 offset:5536                         // 000000005040: D81A15A0 00009F0B
	ds_write_b32 v11, v160 offset:8704                         // 000000005048: D81A2200 0000A00B
	ds_write_b32 v11, v161 offset:9760                         // 000000005050: D81A2620 0000A10B
	ds_write_b32 v11, v162 offset:8832                         // 000000005058: D81A2280 0000A20B
	ds_write_b32 v11, v163 offset:9888                         // 000000005060: D81A26A0 0000A30B
	ds_write_b32 v11, v164 offset:13056                        // 000000005068: D81A3300 0000A40B
	ds_write_b32 v11, v165 offset:14112                        // 000000005070: D81A3720 0000A50B
	ds_write_b32 v11, v166 offset:13184                        // 000000005078: D81A3380 0000A60B
	ds_write_b32 v11, v167 offset:14240                        // 000000005080: D81A37A0 0000A70B
	v_mov_b32_e32 v152, 0                                      // 000000005088: 7F300280
	s_mov_b64 exec, s[80:81]                                   // 00000000508C: BEFE0150
	buffer_load_dword v152, v248, s[16:19], 0 idxen            // 000000005090: E0502000 800498F8
	s_mov_b32 exec_lo, -1                                      // 000000005098: BEFE00C1
	s_mov_b32 exec_hi, -1                                      // 00000000509C: BEFF00C1
	v_mov_b32_e32 v153, 0                                      // 0000000050A0: 7F320280
	s_mov_b64 exec, s[80:81]                                   // 0000000050A4: BEFE0150
	buffer_load_dword v153, v249, s[16:19], 0 idxen            // 0000000050A8: E0502000 800499F9
	s_mov_b32 exec_lo, -1                                      // 0000000050B0: BEFE00C1
	s_mov_b32 exec_hi, -1                                      // 0000000050B4: BEFF00C1
	v_mov_b32_e32 v154, 0                                      // 0000000050B8: 7F340280
	s_mov_b64 exec, s[80:81]                                   // 0000000050BC: BEFE0150
	buffer_load_dword v154, v250, s[16:19], 0 idxen            // 0000000050C0: E0502000 80049AFA
	s_mov_b32 exec_lo, -1                                      // 0000000050C8: BEFE00C1
	s_mov_b32 exec_hi, -1                                      // 0000000050CC: BEFF00C1
	v_mov_b32_e32 v155, 0                                      // 0000000050D0: 7F360280
	s_mov_b64 exec, s[80:81]                                   // 0000000050D4: BEFE0150
	buffer_load_dword v155, v251, s[16:19], 0 idxen            // 0000000050D8: E0502000 80049BFB
	s_mov_b32 exec_lo, -1                                      // 0000000050E0: BEFE00C1
	s_mov_b32 exec_hi, -1                                      // 0000000050E4: BEFF00C1
	s_mul_i32 s60, 4, s7                                       // 0000000050E8: 923C0784
	s_cmp_lt_i32 0, s72                                        // 0000000050EC: BF044880
	s_cselect_b32 s60, s60, 0                                  // 0000000050F0: 853C803C
	v_add_u32_e32 v248, s60, v248                              // 0000000050F4: 69F1F03C
	v_add_u32_e32 v249, s60, v249                              // 0000000050F8: 69F3F23C
	v_add_u32_e32 v250, s60, v250                              // 0000000050FC: 69F5F43C
	v_add_u32_e32 v251, s60, v251                              // 000000005100: 69F7F63C
	v_mov_b32_e32 v156, 0                                      // 000000005104: 7F380280
	s_mov_b64 exec, s[80:81]                                   // 000000005108: BEFE0150
	buffer_load_dword v156, v248, s[16:19], 0 idxen            // 00000000510C: E0502000 80049CF8
	s_mov_b32 exec_lo, -1                                      // 000000005114: BEFE00C1
	s_mov_b32 exec_hi, -1                                      // 000000005118: BEFF00C1
	v_mov_b32_e32 v157, 0                                      // 00000000511C: 7F3A0280
	s_mov_b64 exec, s[80:81]                                   // 000000005120: BEFE0150
	buffer_load_dword v157, v249, s[16:19], 0 idxen            // 000000005124: E0502000 80049DF9
	s_mov_b32 exec_lo, -1                                      // 00000000512C: BEFE00C1
	s_mov_b32 exec_hi, -1                                      // 000000005130: BEFF00C1
	v_mov_b32_e32 v158, 0                                      // 000000005134: 7F3C0280
	s_mov_b64 exec, s[80:81]                                   // 000000005138: BEFE0150
	buffer_load_dword v158, v250, s[16:19], 0 idxen            // 00000000513C: E0502000 80049EFA
	s_mov_b32 exec_lo, -1                                      // 000000005144: BEFE00C1
	s_mov_b32 exec_hi, -1                                      // 000000005148: BEFF00C1
	v_mov_b32_e32 v159, 0                                      // 00000000514C: 7F3E0280
	s_mov_b64 exec, s[80:81]                                   // 000000005150: BEFE0150
	buffer_load_dword v159, v251, s[16:19], 0 idxen            // 000000005154: E0502000 80049FFB
	s_mov_b32 exec_lo, -1                                      // 00000000515C: BEFE00C1
	s_mov_b32 exec_hi, -1                                      // 000000005160: BEFF00C1
	s_mul_i32 s60, 4, s7                                       // 000000005164: 923C0784
	s_cmp_lt_i32 0, s72                                        // 000000005168: BF044880
	s_cselect_b32 s60, s60, 0                                  // 00000000516C: 853C803C
	v_add_u32_e32 v248, s60, v248                              // 000000005170: 69F1F03C
	v_add_u32_e32 v249, s60, v249                              // 000000005174: 69F3F23C
	v_add_u32_e32 v250, s60, v250                              // 000000005178: 69F5F43C
	v_add_u32_e32 v251, s60, v251                              // 00000000517C: 69F7F63C
	v_mov_b32_e32 v160, 0                                      // 000000005180: 7F400280
	s_mov_b64 exec, s[80:81]                                   // 000000005184: BEFE0150
	buffer_load_dword v160, v248, s[16:19], 0 idxen            // 000000005188: E0502000 8004A0F8
	s_mov_b32 exec_lo, -1                                      // 000000005190: BEFE00C1
	s_mov_b32 exec_hi, -1                                      // 000000005194: BEFF00C1
	v_mov_b32_e32 v161, 0                                      // 000000005198: 7F420280
	s_mov_b64 exec, s[80:81]                                   // 00000000519C: BEFE0150
	buffer_load_dword v161, v249, s[16:19], 0 idxen            // 0000000051A0: E0502000 8004A1F9
	s_mov_b32 exec_lo, -1                                      // 0000000051A8: BEFE00C1
	s_mov_b32 exec_hi, -1                                      // 0000000051AC: BEFF00C1
	v_mov_b32_e32 v162, 0                                      // 0000000051B0: 7F440280
	s_mov_b64 exec, s[80:81]                                   // 0000000051B4: BEFE0150
	buffer_load_dword v162, v250, s[16:19], 0 idxen            // 0000000051B8: E0502000 8004A2FA
	s_mov_b32 exec_lo, -1                                      // 0000000051C0: BEFE00C1
	s_mov_b32 exec_hi, -1                                      // 0000000051C4: BEFF00C1
	v_mov_b32_e32 v163, 0                                      // 0000000051C8: 7F460280
	s_mov_b64 exec, s[80:81]                                   // 0000000051CC: BEFE0150
	buffer_load_dword v163, v251, s[16:19], 0 idxen            // 0000000051D0: E0502000 8004A3FB
	s_mov_b32 exec_lo, -1                                      // 0000000051D8: BEFE00C1
	s_mov_b32 exec_hi, -1                                      // 0000000051DC: BEFF00C1
	s_mul_i32 s60, 4, s7                                       // 0000000051E0: 923C0784
	s_cmp_lt_i32 0, s72                                        // 0000000051E4: BF044880
	s_cselect_b32 s60, s60, 0                                  // 0000000051E8: 853C803C
	v_add_u32_e32 v248, s60, v248                              // 0000000051EC: 69F1F03C
	v_add_u32_e32 v249, s60, v249                              // 0000000051F0: 69F3F23C
	v_add_u32_e32 v250, s60, v250                              // 0000000051F4: 69F5F43C
	v_add_u32_e32 v251, s60, v251                              // 0000000051F8: 69F7F63C
	v_mov_b32_e32 v164, 0                                      // 0000000051FC: 7F480280
	s_mov_b64 exec, s[80:81]                                   // 000000005200: BEFE0150
	buffer_load_dword v164, v248, s[16:19], 0 idxen            // 000000005204: E0502000 8004A4F8
	s_mov_b32 exec_lo, -1                                      // 00000000520C: BEFE00C1
	s_mov_b32 exec_hi, -1                                      // 000000005210: BEFF00C1
	v_mov_b32_e32 v165, 0                                      // 000000005214: 7F4A0280
	s_mov_b64 exec, s[80:81]                                   // 000000005218: BEFE0150
	buffer_load_dword v165, v249, s[16:19], 0 idxen            // 00000000521C: E0502000 8004A5F9
	s_mov_b32 exec_lo, -1                                      // 000000005224: BEFE00C1
	s_mov_b32 exec_hi, -1                                      // 000000005228: BEFF00C1
	v_mov_b32_e32 v166, 0                                      // 00000000522C: 7F4C0280
	s_mov_b64 exec, s[80:81]                                   // 000000005230: BEFE0150
	buffer_load_dword v166, v250, s[16:19], 0 idxen            // 000000005234: E0502000 8004A6FA
	s_mov_b32 exec_lo, -1                                      // 00000000523C: BEFE00C1
	s_mov_b32 exec_hi, -1                                      // 000000005240: BEFF00C1
	v_mov_b32_e32 v167, 0                                      // 000000005244: 7F4E0280
	s_mov_b64 exec, s[80:81]                                   // 000000005248: BEFE0150
	buffer_load_dword v167, v251, s[16:19], 0 idxen            // 00000000524C: E0502000 8004A7FB
	s_mov_b32 exec_lo, -1                                      // 000000005254: BEFE00C1
	s_mov_b32 exec_hi, -1                                      // 000000005258: BEFF00C1
	s_mul_i32 s60, 4, s7                                       // 00000000525C: 923C0784
	s_cmp_lt_i32 1, s72                                        // 000000005260: BF044881
	s_cselect_b32 s60, s60, 0                                  // 000000005264: 853C803C
	v_add_u32_e32 v248, s60, v248                              // 000000005268: 69F1F03C
	v_add_u32_e32 v249, s60, v249                              // 00000000526C: 69F3F23C
	v_add_u32_e32 v250, s60, v250                              // 000000005270: 69F5F43C
	v_add_u32_e32 v251, s60, v251                              // 000000005274: 69F7F63C
	s_waitcnt lgkmcnt(0)                                       // 000000005278: BF8CC07F
	s_barrier                                                  // 00000000527C: BF8A0000
	ds_read_b128 a[48:51], v23 offset:17408                    // 000000005280: DBFE4400 30000017
	ds_read_b128 a[52:55], v23 offset:17664                    // 000000005288: DBFE4500 34000017
	ds_read_b128 a[56:59], v23 offset:26112                    // 000000005290: DBFE6600 38000017
	ds_read_b128 a[60:63], v23 offset:26368                    // 000000005298: DBFE6700 3C000017
	ds_read_b128 a[0:3], v22                                   // 0000000052A0: DBFE0000 00000016
	ds_read_b128 a[4:7], v22 offset:512                        // 0000000052A8: DBFE0200 04000016
	ds_read_b128 a[8:11], v22 offset:2176                      // 0000000052B0: DBFE0880 08000016
	ds_read_b128 a[12:15], v22 offset:2688                     // 0000000052B8: DBFE0A80 0C000016
	s_waitcnt vmcnt(32) lgkmcnt(0)                             // 0000000052C0: BF8C8070
	s_barrier                                                  // 0000000052C4: BF8A0000
	s_cmp_lt_i32 1, s72                                        // 0000000052C8: BF044881
	s_cbranch_scc1 label_0544                                  // 0000000052CC: BF850010
	v_mov_b32_e32 v168, 0                                      // 0000000052D0: 7F500280
	v_mov_b32_e32 v169, 0                                      // 0000000052D4: 7F520280
	v_mov_b32_e32 v170, 0                                      // 0000000052D8: 7F540280
	v_mov_b32_e32 v171, 0                                      // 0000000052DC: 7F560280
	v_mov_b32_e32 v172, 0                                      // 0000000052E0: 7F580280
	v_mov_b32_e32 v173, 0                                      // 0000000052E4: 7F5A0280
	v_mov_b32_e32 v174, 0                                      // 0000000052E8: 7F5C0280
	v_mov_b32_e32 v175, 0                                      // 0000000052EC: 7F5E0280
	v_mov_b32_e32 v176, 0                                      // 0000000052F0: 7F600280
	v_mov_b32_e32 v177, 0                                      // 0000000052F4: 7F620280
	v_mov_b32_e32 v178, 0                                      // 0000000052F8: 7F640280
	v_mov_b32_e32 v179, 0                                      // 0000000052FC: 7F660280
	v_mov_b32_e32 v180, 0                                      // 000000005300: 7F680280
	v_mov_b32_e32 v181, 0                                      // 000000005304: 7F6A0280
	v_mov_b32_e32 v182, 0                                      // 000000005308: 7F6C0280
	v_mov_b32_e32 v183, 0                                      // 00000000530C: 7F6E0280

0000000000005310 <label_0544>:
	v_perm_b32 v200, v169, v168, s63                           // 000000005310: D1ED00C8 00FF51A9
	v_perm_b32 v201, v169, v168, s64                           // 000000005318: D1ED00C9 010351A9
	v_perm_b32 v202, v171, v170, s63                           // 000000005320: D1ED00CA 00FF55AB
	v_perm_b32 v203, v171, v170, s64                           // 000000005328: D1ED00CB 010355AB
	v_perm_b32 v204, v173, v172, s63                           // 000000005330: D1ED00CC 00FF59AD
	v_perm_b32 v205, v173, v172, s64                           // 000000005338: D1ED00CD 010359AD
	v_perm_b32 v206, v175, v174, s63                           // 000000005340: D1ED00CE 00FF5DAF
	v_perm_b32 v207, v175, v174, s64                           // 000000005348: D1ED00CF 01035DAF
	v_perm_b32 v208, v177, v176, s63                           // 000000005350: D1ED00D0 00FF61B1
	v_perm_b32 v209, v177, v176, s64                           // 000000005358: D1ED00D1 010361B1
	v_perm_b32 v210, v179, v178, s63                           // 000000005360: D1ED00D2 00FF65B3
	v_perm_b32 v211, v179, v178, s64                           // 000000005368: D1ED00D3 010365B3
	v_perm_b32 v212, v181, v180, s63                           // 000000005370: D1ED00D4 00FF69B5
	v_perm_b32 v213, v181, v180, s64                           // 000000005378: D1ED00D5 010369B5
	v_perm_b32 v214, v183, v182, s63                           // 000000005380: D1ED00D6 00FF6DB7
	v_perm_b32 v215, v183, v182, s64                           // 000000005388: D1ED00D7 01036DB7
	ds_write_b32 v13, v200 offset:17408                        // 000000005390: D81A4400 0000C80D
	ds_write_b32 v13, v201 offset:18464                        // 000000005398: D81A4820 0000C90D
	ds_write_b32 v13, v202 offset:17536                        // 0000000053A0: D81A4480 0000CA0D
	ds_write_b32 v13, v203 offset:18592                        // 0000000053A8: D81A48A0 0000CB0D
	ds_write_b32 v13, v204 offset:21760                        // 0000000053B0: D81A5500 0000CC0D
	ds_write_b32 v13, v205 offset:22816                        // 0000000053B8: D81A5920 0000CD0D
	ds_write_b32 v13, v206 offset:21888                        // 0000000053C0: D81A5580 0000CE0D
	ds_write_b32 v13, v207 offset:22944                        // 0000000053C8: D81A59A0 0000CF0D
	ds_write_b32 v13, v208 offset:26112                        // 0000000053D0: D81A6600 0000D00D
	ds_write_b32 v13, v209 offset:27168                        // 0000000053D8: D81A6A20 0000D10D
	ds_write_b32 v13, v210 offset:26240                        // 0000000053E0: D81A6680 0000D20D
	ds_write_b32 v13, v211 offset:27296                        // 0000000053E8: D81A6AA0 0000D30D
	ds_write_b32 v13, v212 offset:30464                        // 0000000053F0: D81A7700 0000D40D
	ds_write_b32 v13, v213 offset:31520                        // 0000000053F8: D81A7B20 0000D50D
	ds_write_b32 v13, v214 offset:30592                        // 000000005400: D81A7780 0000D60D
	ds_write_b32 v13, v215 offset:31648                        // 000000005408: D81A7BA0 0000D70D
	ds_write_b32 v11, v168                                     // 000000005410: D81A0000 0000A80B
	ds_write_b32 v11, v169 offset:1056                         // 000000005418: D81A0420 0000A90B
	ds_write_b32 v11, v170 offset:128                          // 000000005420: D81A0080 0000AA0B
	ds_write_b32 v11, v171 offset:1184                         // 000000005428: D81A04A0 0000AB0B
	ds_write_b32 v11, v172 offset:4352                         // 000000005430: D81A1100 0000AC0B
	ds_write_b32 v11, v173 offset:5408                         // 000000005438: D81A1520 0000AD0B
	ds_write_b32 v11, v174 offset:4480                         // 000000005440: D81A1180 0000AE0B
	ds_write_b32 v11, v175 offset:5536                         // 000000005448: D81A15A0 0000AF0B
	ds_write_b32 v11, v176 offset:8704                         // 000000005450: D81A2200 0000B00B
	ds_write_b32 v11, v177 offset:9760                         // 000000005458: D81A2620 0000B10B
	ds_write_b32 v11, v178 offset:8832                         // 000000005460: D81A2280 0000B20B
	ds_write_b32 v11, v179 offset:9888                         // 000000005468: D81A26A0 0000B30B
	ds_write_b32 v11, v180 offset:13056                        // 000000005470: D81A3300 0000B40B
	ds_write_b32 v11, v181 offset:14112                        // 000000005478: D81A3720 0000B50B
	ds_write_b32 v11, v182 offset:13184                        // 000000005480: D81A3380 0000B60B
	ds_write_b32 v11, v183 offset:14240                        // 000000005488: D81A37A0 0000B70B
	v_mov_b32_e32 v168, 0                                      // 000000005490: 7F500280
	s_mov_b64 exec, s[80:81]                                   // 000000005494: BEFE0150
	buffer_load_dword v168, v248, s[16:19], 0 idxen            // 000000005498: E0502000 8004A8F8
	s_mov_b32 exec_lo, -1                                      // 0000000054A0: BEFE00C1
	s_mov_b32 exec_hi, -1                                      // 0000000054A4: BEFF00C1
	v_mov_b32_e32 v169, 0                                      // 0000000054A8: 7F520280
	s_mov_b64 exec, s[80:81]                                   // 0000000054AC: BEFE0150
	buffer_load_dword v169, v249, s[16:19], 0 idxen            // 0000000054B0: E0502000 8004A9F9
	s_mov_b32 exec_lo, -1                                      // 0000000054B8: BEFE00C1
	s_mov_b32 exec_hi, -1                                      // 0000000054BC: BEFF00C1
	v_mov_b32_e32 v170, 0                                      // 0000000054C0: 7F540280
	s_mov_b64 exec, s[80:81]                                   // 0000000054C4: BEFE0150
	buffer_load_dword v170, v250, s[16:19], 0 idxen            // 0000000054C8: E0502000 8004AAFA
	s_mov_b32 exec_lo, -1                                      // 0000000054D0: BEFE00C1
	s_mov_b32 exec_hi, -1                                      // 0000000054D4: BEFF00C1
	v_mov_b32_e32 v171, 0                                      // 0000000054D8: 7F560280
	s_mov_b64 exec, s[80:81]                                   // 0000000054DC: BEFE0150
	buffer_load_dword v171, v251, s[16:19], 0 idxen            // 0000000054E0: E0502000 8004ABFB
	s_mov_b32 exec_lo, -1                                      // 0000000054E8: BEFE00C1
	s_mov_b32 exec_hi, -1                                      // 0000000054EC: BEFF00C1
	s_mul_i32 s60, 4, s7                                       // 0000000054F0: 923C0784
	s_cmp_lt_i32 1, s72                                        // 0000000054F4: BF044881
	s_cselect_b32 s60, s60, 0                                  // 0000000054F8: 853C803C
	v_add_u32_e32 v248, s60, v248                              // 0000000054FC: 69F1F03C
	v_add_u32_e32 v249, s60, v249                              // 000000005500: 69F3F23C
	v_add_u32_e32 v250, s60, v250                              // 000000005504: 69F5F43C
	v_add_u32_e32 v251, s60, v251                              // 000000005508: 69F7F63C
	v_mov_b32_e32 v172, 0                                      // 00000000550C: 7F580280
	s_mov_b64 exec, s[80:81]                                   // 000000005510: BEFE0150
	buffer_load_dword v172, v248, s[16:19], 0 idxen            // 000000005514: E0502000 8004ACF8
	s_mov_b32 exec_lo, -1                                      // 00000000551C: BEFE00C1
	s_mov_b32 exec_hi, -1                                      // 000000005520: BEFF00C1
	v_mov_b32_e32 v173, 0                                      // 000000005524: 7F5A0280
	s_mov_b64 exec, s[80:81]                                   // 000000005528: BEFE0150
	buffer_load_dword v173, v249, s[16:19], 0 idxen            // 00000000552C: E0502000 8004ADF9
	s_mov_b32 exec_lo, -1                                      // 000000005534: BEFE00C1
	s_mov_b32 exec_hi, -1                                      // 000000005538: BEFF00C1
	v_mov_b32_e32 v174, 0                                      // 00000000553C: 7F5C0280
	s_mov_b64 exec, s[80:81]                                   // 000000005540: BEFE0150
	buffer_load_dword v174, v250, s[16:19], 0 idxen            // 000000005544: E0502000 8004AEFA
	s_mov_b32 exec_lo, -1                                      // 00000000554C: BEFE00C1
	s_mov_b32 exec_hi, -1                                      // 000000005550: BEFF00C1
	v_mov_b32_e32 v175, 0                                      // 000000005554: 7F5E0280
	s_mov_b64 exec, s[80:81]                                   // 000000005558: BEFE0150
	buffer_load_dword v175, v251, s[16:19], 0 idxen            // 00000000555C: E0502000 8004AFFB
	s_mov_b32 exec_lo, -1                                      // 000000005564: BEFE00C1
	s_mov_b32 exec_hi, -1                                      // 000000005568: BEFF00C1
	s_mul_i32 s60, 4, s7                                       // 00000000556C: 923C0784
	s_cmp_lt_i32 1, s72                                        // 000000005570: BF044881
	s_cselect_b32 s60, s60, 0                                  // 000000005574: 853C803C
	v_add_u32_e32 v248, s60, v248                              // 000000005578: 69F1F03C
	v_add_u32_e32 v249, s60, v249                              // 00000000557C: 69F3F23C
	v_add_u32_e32 v250, s60, v250                              // 000000005580: 69F5F43C
	v_add_u32_e32 v251, s60, v251                              // 000000005584: 69F7F63C
	v_mov_b32_e32 v176, 0                                      // 000000005588: 7F600280
	s_mov_b64 exec, s[80:81]                                   // 00000000558C: BEFE0150
	buffer_load_dword v176, v248, s[16:19], 0 idxen            // 000000005590: E0502000 8004B0F8
	s_mov_b32 exec_lo, -1                                      // 000000005598: BEFE00C1
	s_mov_b32 exec_hi, -1                                      // 00000000559C: BEFF00C1
	v_mov_b32_e32 v177, 0                                      // 0000000055A0: 7F620280
	s_mov_b64 exec, s[80:81]                                   // 0000000055A4: BEFE0150
	buffer_load_dword v177, v249, s[16:19], 0 idxen            // 0000000055A8: E0502000 8004B1F9
	s_mov_b32 exec_lo, -1                                      // 0000000055B0: BEFE00C1
	s_mov_b32 exec_hi, -1                                      // 0000000055B4: BEFF00C1
	v_mov_b32_e32 v178, 0                                      // 0000000055B8: 7F640280
	s_mov_b64 exec, s[80:81]                                   // 0000000055BC: BEFE0150
	buffer_load_dword v178, v250, s[16:19], 0 idxen            // 0000000055C0: E0502000 8004B2FA
	s_mov_b32 exec_lo, -1                                      // 0000000055C8: BEFE00C1
	s_mov_b32 exec_hi, -1                                      // 0000000055CC: BEFF00C1
	v_mov_b32_e32 v179, 0                                      // 0000000055D0: 7F660280
	s_mov_b64 exec, s[80:81]                                   // 0000000055D4: BEFE0150
	buffer_load_dword v179, v251, s[16:19], 0 idxen            // 0000000055D8: E0502000 8004B3FB
	s_mov_b32 exec_lo, -1                                      // 0000000055E0: BEFE00C1
	s_mov_b32 exec_hi, -1                                      // 0000000055E4: BEFF00C1
	s_mul_i32 s60, 4, s7                                       // 0000000055E8: 923C0784
	s_cmp_lt_i32 1, s72                                        // 0000000055EC: BF044881
	s_cselect_b32 s60, s60, 0                                  // 0000000055F0: 853C803C
	v_add_u32_e32 v248, s60, v248                              // 0000000055F4: 69F1F03C
	v_add_u32_e32 v249, s60, v249                              // 0000000055F8: 69F3F23C
	v_add_u32_e32 v250, s60, v250                              // 0000000055FC: 69F5F43C
	v_add_u32_e32 v251, s60, v251                              // 000000005600: 69F7F63C
	v_mov_b32_e32 v180, 0                                      // 000000005604: 7F680280
	s_mov_b64 exec, s[80:81]                                   // 000000005608: BEFE0150
	buffer_load_dword v180, v248, s[16:19], 0 idxen            // 00000000560C: E0502000 8004B4F8
	s_mov_b32 exec_lo, -1                                      // 000000005614: BEFE00C1
	s_mov_b32 exec_hi, -1                                      // 000000005618: BEFF00C1
	v_mov_b32_e32 v181, 0                                      // 00000000561C: 7F6A0280
	s_mov_b64 exec, s[80:81]                                   // 000000005620: BEFE0150
	buffer_load_dword v181, v249, s[16:19], 0 idxen            // 000000005624: E0502000 8004B5F9
	s_mov_b32 exec_lo, -1                                      // 00000000562C: BEFE00C1
	s_mov_b32 exec_hi, -1                                      // 000000005630: BEFF00C1
	v_mov_b32_e32 v182, 0                                      // 000000005634: 7F6C0280
	s_mov_b64 exec, s[80:81]                                   // 000000005638: BEFE0150
	buffer_load_dword v182, v250, s[16:19], 0 idxen            // 00000000563C: E0502000 8004B6FA
	s_mov_b32 exec_lo, -1                                      // 000000005644: BEFE00C1
	s_mov_b32 exec_hi, -1                                      // 000000005648: BEFF00C1
	v_mov_b32_e32 v183, 0                                      // 00000000564C: 7F6E0280
	s_mov_b64 exec, s[80:81]                                   // 000000005650: BEFE0150
	buffer_load_dword v183, v251, s[16:19], 0 idxen            // 000000005654: E0502000 8004B7FB
	s_mov_b32 exec_lo, -1                                      // 00000000565C: BEFE00C1
	s_mov_b32 exec_hi, -1                                      // 000000005660: BEFF00C1
	s_mul_i32 s60, 4, s7                                       // 000000005664: 923C0784
	s_cmp_lt_i32 2, s72                                        // 000000005668: BF044882
	s_cselect_b32 s60, s60, 0                                  // 00000000566C: 853C803C
	v_add_u32_e32 v248, s60, v248                              // 000000005670: 69F1F03C
	v_add_u32_e32 v249, s60, v249                              // 000000005674: 69F3F23C
	v_add_u32_e32 v250, s60, v250                              // 000000005678: 69F5F43C
	v_add_u32_e32 v251, s60, v251                              // 00000000567C: 69F7F63C
	s_waitcnt lgkmcnt(0)                                       // 000000005680: BF8CC07F
	s_barrier                                                  // 000000005684: BF8A0000
	ds_read_b128 a[64:67], v23 offset:17408                    // 000000005688: DBFE4400 40000017
	ds_read_b128 a[68:71], v23 offset:17664                    // 000000005690: DBFE4500 44000017
	ds_read_b128 a[72:75], v23 offset:26112                    // 000000005698: DBFE6600 48000017
	ds_read_b128 a[76:79], v23 offset:26368                    // 0000000056A0: DBFE6700 4C000017
	ds_read_b128 a[16:19], v22                                 // 0000000056A8: DBFE0000 10000016
	ds_read_b128 a[20:23], v22 offset:512                      // 0000000056B0: DBFE0200 14000016
	ds_read_b128 a[24:27], v22 offset:2176                     // 0000000056B8: DBFE0880 18000016
	ds_read_b128 a[28:31], v22 offset:2688                     // 0000000056C0: DBFE0A80 1C000016
	s_waitcnt vmcnt(32) lgkmcnt(0)                             // 0000000056C8: BF8C8070
	s_barrier                                                  // 0000000056CC: BF8A0000
	s_cmp_lt_i32 2, s72                                        // 0000000056D0: BF044882
	s_cbranch_scc1 label_0646                                  // 0000000056D4: BF850010
	v_mov_b32_e32 v184, 0                                      // 0000000056D8: 7F700280
	v_mov_b32_e32 v185, 0                                      // 0000000056DC: 7F720280
	v_mov_b32_e32 v186, 0                                      // 0000000056E0: 7F740280
	v_mov_b32_e32 v187, 0                                      // 0000000056E4: 7F760280
	v_mov_b32_e32 v188, 0                                      // 0000000056E8: 7F780280
	v_mov_b32_e32 v189, 0                                      // 0000000056EC: 7F7A0280
	v_mov_b32_e32 v190, 0                                      // 0000000056F0: 7F7C0280
	v_mov_b32_e32 v191, 0                                      // 0000000056F4: 7F7E0280
	v_mov_b32_e32 v192, 0                                      // 0000000056F8: 7F800280
	v_mov_b32_e32 v193, 0                                      // 0000000056FC: 7F820280
	v_mov_b32_e32 v194, 0                                      // 000000005700: 7F840280
	v_mov_b32_e32 v195, 0                                      // 000000005704: 7F860280
	v_mov_b32_e32 v196, 0                                      // 000000005708: 7F880280
	v_mov_b32_e32 v197, 0                                      // 00000000570C: 7F8A0280
	v_mov_b32_e32 v198, 0                                      // 000000005710: 7F8C0280
	v_mov_b32_e32 v199, 0                                      // 000000005714: 7F8E0280

0000000000005718 <label_0646>:
	v_perm_b32 v200, v185, v184, s63                           // 000000005718: D1ED00C8 00FF71B9
	v_perm_b32 v201, v185, v184, s64                           // 000000005720: D1ED00C9 010371B9
	v_perm_b32 v202, v187, v186, s63                           // 000000005728: D1ED00CA 00FF75BB
	v_perm_b32 v203, v187, v186, s64                           // 000000005730: D1ED00CB 010375BB
	v_perm_b32 v204, v189, v188, s63                           // 000000005738: D1ED00CC 00FF79BD
	v_perm_b32 v205, v189, v188, s64                           // 000000005740: D1ED00CD 010379BD
	v_perm_b32 v206, v191, v190, s63                           // 000000005748: D1ED00CE 00FF7DBF
	v_perm_b32 v207, v191, v190, s64                           // 000000005750: D1ED00CF 01037DBF
	v_perm_b32 v208, v193, v192, s63                           // 000000005758: D1ED00D0 00FF81C1
	v_perm_b32 v209, v193, v192, s64                           // 000000005760: D1ED00D1 010381C1
	v_perm_b32 v210, v195, v194, s63                           // 000000005768: D1ED00D2 00FF85C3
	v_perm_b32 v211, v195, v194, s64                           // 000000005770: D1ED00D3 010385C3
	v_perm_b32 v212, v197, v196, s63                           // 000000005778: D1ED00D4 00FF89C5
	v_perm_b32 v213, v197, v196, s64                           // 000000005780: D1ED00D5 010389C5
	v_perm_b32 v214, v199, v198, s63                           // 000000005788: D1ED00D6 00FF8DC7
	v_perm_b32 v215, v199, v198, s64                           // 000000005790: D1ED00D7 01038DC7
	ds_write_b32 v13, v200 offset:17408                        // 000000005798: D81A4400 0000C80D
	ds_write_b32 v13, v201 offset:18464                        // 0000000057A0: D81A4820 0000C90D
	ds_write_b32 v13, v202 offset:17536                        // 0000000057A8: D81A4480 0000CA0D
	ds_write_b32 v13, v203 offset:18592                        // 0000000057B0: D81A48A0 0000CB0D
	ds_write_b32 v13, v204 offset:21760                        // 0000000057B8: D81A5500 0000CC0D
	ds_write_b32 v13, v205 offset:22816                        // 0000000057C0: D81A5920 0000CD0D
	ds_write_b32 v13, v206 offset:21888                        // 0000000057C8: D81A5580 0000CE0D
	ds_write_b32 v13, v207 offset:22944                        // 0000000057D0: D81A59A0 0000CF0D
	ds_write_b32 v13, v208 offset:26112                        // 0000000057D8: D81A6600 0000D00D
	ds_write_b32 v13, v209 offset:27168                        // 0000000057E0: D81A6A20 0000D10D
	ds_write_b32 v13, v210 offset:26240                        // 0000000057E8: D81A6680 0000D20D
	ds_write_b32 v13, v211 offset:27296                        // 0000000057F0: D81A6AA0 0000D30D
	ds_write_b32 v13, v212 offset:30464                        // 0000000057F8: D81A7700 0000D40D
	ds_write_b32 v13, v213 offset:31520                        // 000000005800: D81A7B20 0000D50D
	ds_write_b32 v13, v214 offset:30592                        // 000000005808: D81A7780 0000D60D
	ds_write_b32 v13, v215 offset:31648                        // 000000005810: D81A7BA0 0000D70D
	ds_write_b32 v11, v184                                     // 000000005818: D81A0000 0000B80B
	ds_write_b32 v11, v185 offset:1056                         // 000000005820: D81A0420 0000B90B
	ds_write_b32 v11, v186 offset:128                          // 000000005828: D81A0080 0000BA0B
	ds_write_b32 v11, v187 offset:1184                         // 000000005830: D81A04A0 0000BB0B
	ds_write_b32 v11, v188 offset:4352                         // 000000005838: D81A1100 0000BC0B
	ds_write_b32 v11, v189 offset:5408                         // 000000005840: D81A1520 0000BD0B
	ds_write_b32 v11, v190 offset:4480                         // 000000005848: D81A1180 0000BE0B
	ds_write_b32 v11, v191 offset:5536                         // 000000005850: D81A15A0 0000BF0B
	ds_write_b32 v11, v192 offset:8704                         // 000000005858: D81A2200 0000C00B
	ds_write_b32 v11, v193 offset:9760                         // 000000005860: D81A2620 0000C10B
	ds_write_b32 v11, v194 offset:8832                         // 000000005868: D81A2280 0000C20B
	ds_write_b32 v11, v195 offset:9888                         // 000000005870: D81A26A0 0000C30B
	ds_write_b32 v11, v196 offset:13056                        // 000000005878: D81A3300 0000C40B
	ds_write_b32 v11, v197 offset:14112                        // 000000005880: D81A3720 0000C50B
	ds_write_b32 v11, v198 offset:13184                        // 000000005888: D81A3380 0000C60B
	ds_write_b32 v11, v199 offset:14240                        // 000000005890: D81A37A0 0000C70B
	v_mov_b32_e32 v184, 0                                      // 000000005898: 7F700280
	s_mov_b64 exec, s[80:81]                                   // 00000000589C: BEFE0150
	buffer_load_dword v184, v248, s[16:19], 0 idxen            // 0000000058A0: E0502000 8004B8F8
	s_mov_b32 exec_lo, -1                                      // 0000000058A8: BEFE00C1
	s_mov_b32 exec_hi, -1                                      // 0000000058AC: BEFF00C1
	v_mov_b32_e32 v185, 0                                      // 0000000058B0: 7F720280
	s_mov_b64 exec, s[80:81]                                   // 0000000058B4: BEFE0150
	buffer_load_dword v185, v249, s[16:19], 0 idxen            // 0000000058B8: E0502000 8004B9F9
	s_mov_b32 exec_lo, -1                                      // 0000000058C0: BEFE00C1
	s_mov_b32 exec_hi, -1                                      // 0000000058C4: BEFF00C1
	v_mov_b32_e32 v186, 0                                      // 0000000058C8: 7F740280
	s_mov_b64 exec, s[80:81]                                   // 0000000058CC: BEFE0150
	buffer_load_dword v186, v250, s[16:19], 0 idxen            // 0000000058D0: E0502000 8004BAFA
	s_mov_b32 exec_lo, -1                                      // 0000000058D8: BEFE00C1
	s_mov_b32 exec_hi, -1                                      // 0000000058DC: BEFF00C1
	v_mov_b32_e32 v187, 0                                      // 0000000058E0: 7F760280
	s_mov_b64 exec, s[80:81]                                   // 0000000058E4: BEFE0150
	buffer_load_dword v187, v251, s[16:19], 0 idxen            // 0000000058E8: E0502000 8004BBFB
	s_mov_b32 exec_lo, -1                                      // 0000000058F0: BEFE00C1
	s_mov_b32 exec_hi, -1                                      // 0000000058F4: BEFF00C1
	s_mul_i32 s60, 4, s7                                       // 0000000058F8: 923C0784
	s_cmp_lt_i32 2, s72                                        // 0000000058FC: BF044882
	s_cselect_b32 s60, s60, 0                                  // 000000005900: 853C803C
	v_add_u32_e32 v248, s60, v248                              // 000000005904: 69F1F03C
	v_add_u32_e32 v249, s60, v249                              // 000000005908: 69F3F23C
	v_add_u32_e32 v250, s60, v250                              // 00000000590C: 69F5F43C
	v_add_u32_e32 v251, s60, v251                              // 000000005910: 69F7F63C
	v_mov_b32_e32 v188, 0                                      // 000000005914: 7F780280
	s_mov_b64 exec, s[80:81]                                   // 000000005918: BEFE0150
	buffer_load_dword v188, v248, s[16:19], 0 idxen            // 00000000591C: E0502000 8004BCF8
	s_mov_b32 exec_lo, -1                                      // 000000005924: BEFE00C1
	s_mov_b32 exec_hi, -1                                      // 000000005928: BEFF00C1
	v_mov_b32_e32 v189, 0                                      // 00000000592C: 7F7A0280
	s_mov_b64 exec, s[80:81]                                   // 000000005930: BEFE0150
	buffer_load_dword v189, v249, s[16:19], 0 idxen            // 000000005934: E0502000 8004BDF9
	s_mov_b32 exec_lo, -1                                      // 00000000593C: BEFE00C1
	s_mov_b32 exec_hi, -1                                      // 000000005940: BEFF00C1
	v_mov_b32_e32 v190, 0                                      // 000000005944: 7F7C0280
	s_mov_b64 exec, s[80:81]                                   // 000000005948: BEFE0150
	buffer_load_dword v190, v250, s[16:19], 0 idxen            // 00000000594C: E0502000 8004BEFA
	s_mov_b32 exec_lo, -1                                      // 000000005954: BEFE00C1
	s_mov_b32 exec_hi, -1                                      // 000000005958: BEFF00C1
	v_mov_b32_e32 v191, 0                                      // 00000000595C: 7F7E0280
	s_mov_b64 exec, s[80:81]                                   // 000000005960: BEFE0150
	buffer_load_dword v191, v251, s[16:19], 0 idxen            // 000000005964: E0502000 8004BFFB
	s_mov_b32 exec_lo, -1                                      // 00000000596C: BEFE00C1
	s_mov_b32 exec_hi, -1                                      // 000000005970: BEFF00C1
	s_mul_i32 s60, 4, s7                                       // 000000005974: 923C0784
	s_cmp_lt_i32 2, s72                                        // 000000005978: BF044882
	s_cselect_b32 s60, s60, 0                                  // 00000000597C: 853C803C
	v_add_u32_e32 v248, s60, v248                              // 000000005980: 69F1F03C
	v_add_u32_e32 v249, s60, v249                              // 000000005984: 69F3F23C
	v_add_u32_e32 v250, s60, v250                              // 000000005988: 69F5F43C
	v_add_u32_e32 v251, s60, v251                              // 00000000598C: 69F7F63C
	v_mov_b32_e32 v192, 0                                      // 000000005990: 7F800280
	s_mov_b64 exec, s[80:81]                                   // 000000005994: BEFE0150
	buffer_load_dword v192, v248, s[16:19], 0 idxen            // 000000005998: E0502000 8004C0F8
	s_mov_b32 exec_lo, -1                                      // 0000000059A0: BEFE00C1
	s_mov_b32 exec_hi, -1                                      // 0000000059A4: BEFF00C1
	v_mov_b32_e32 v193, 0                                      // 0000000059A8: 7F820280
	s_mov_b64 exec, s[80:81]                                   // 0000000059AC: BEFE0150
	buffer_load_dword v193, v249, s[16:19], 0 idxen            // 0000000059B0: E0502000 8004C1F9
	s_mov_b32 exec_lo, -1                                      // 0000000059B8: BEFE00C1
	s_mov_b32 exec_hi, -1                                      // 0000000059BC: BEFF00C1
	v_mov_b32_e32 v194, 0                                      // 0000000059C0: 7F840280
	s_mov_b64 exec, s[80:81]                                   // 0000000059C4: BEFE0150
	buffer_load_dword v194, v250, s[16:19], 0 idxen            // 0000000059C8: E0502000 8004C2FA
	s_mov_b32 exec_lo, -1                                      // 0000000059D0: BEFE00C1
	s_mov_b32 exec_hi, -1                                      // 0000000059D4: BEFF00C1
	v_mov_b32_e32 v195, 0                                      // 0000000059D8: 7F860280
	s_mov_b64 exec, s[80:81]                                   // 0000000059DC: BEFE0150
	buffer_load_dword v195, v251, s[16:19], 0 idxen            // 0000000059E0: E0502000 8004C3FB
	s_mov_b32 exec_lo, -1                                      // 0000000059E8: BEFE00C1
	s_mov_b32 exec_hi, -1                                      // 0000000059EC: BEFF00C1
	s_mul_i32 s60, 4, s7                                       // 0000000059F0: 923C0784
	s_cmp_lt_i32 2, s72                                        // 0000000059F4: BF044882
	s_cselect_b32 s60, s60, 0                                  // 0000000059F8: 853C803C
	v_add_u32_e32 v248, s60, v248                              // 0000000059FC: 69F1F03C
	v_add_u32_e32 v249, s60, v249                              // 000000005A00: 69F3F23C
	v_add_u32_e32 v250, s60, v250                              // 000000005A04: 69F5F43C
	v_add_u32_e32 v251, s60, v251                              // 000000005A08: 69F7F63C
	v_mov_b32_e32 v196, 0                                      // 000000005A0C: 7F880280
	s_mov_b64 exec, s[80:81]                                   // 000000005A10: BEFE0150
	buffer_load_dword v196, v248, s[16:19], 0 idxen            // 000000005A14: E0502000 8004C4F8
	s_mov_b32 exec_lo, -1                                      // 000000005A1C: BEFE00C1
	s_mov_b32 exec_hi, -1                                      // 000000005A20: BEFF00C1
	v_mov_b32_e32 v197, 0                                      // 000000005A24: 7F8A0280
	s_mov_b64 exec, s[80:81]                                   // 000000005A28: BEFE0150
	buffer_load_dword v197, v249, s[16:19], 0 idxen            // 000000005A2C: E0502000 8004C5F9
	s_mov_b32 exec_lo, -1                                      // 000000005A34: BEFE00C1
	s_mov_b32 exec_hi, -1                                      // 000000005A38: BEFF00C1
	v_mov_b32_e32 v198, 0                                      // 000000005A3C: 7F8C0280
	s_mov_b64 exec, s[80:81]                                   // 000000005A40: BEFE0150
	buffer_load_dword v198, v250, s[16:19], 0 idxen            // 000000005A44: E0502000 8004C6FA
	s_mov_b32 exec_lo, -1                                      // 000000005A4C: BEFE00C1
	s_mov_b32 exec_hi, -1                                      // 000000005A50: BEFF00C1
	v_mov_b32_e32 v199, 0                                      // 000000005A54: 7F8E0280
	s_mov_b64 exec, s[80:81]                                   // 000000005A58: BEFE0150
	buffer_load_dword v199, v251, s[16:19], 0 idxen            // 000000005A5C: E0502000 8004C7FB
	s_mov_b32 exec_lo, -1                                      // 000000005A64: BEFE00C1
	s_mov_b32 exec_hi, -1                                      // 000000005A68: BEFF00C1
	s_mul_i32 s60, 4, s7                                       // 000000005A6C: 923C0784
	s_cmp_lt_i32 3, s72                                        // 000000005A70: BF044883
	s_cselect_b32 s60, s60, 0                                  // 000000005A74: 853C803C
	v_add_u32_e32 v248, s60, v248                              // 000000005A78: 69F1F03C
	v_add_u32_e32 v249, s60, v249                              // 000000005A7C: 69F3F23C
	v_add_u32_e32 v250, s60, v250                              // 000000005A80: 69F5F43C
	v_add_u32_e32 v251, s60, v251                              // 000000005A84: 69F7F63C
	s_waitcnt lgkmcnt(0)                                       // 000000005A88: BF8CC07F
	s_barrier                                                  // 000000005A8C: BF8A0000
	ds_read_b128 a[80:83], v23 offset:17408                    // 000000005A90: DBFE4400 50000017
	ds_read_b128 a[84:87], v23 offset:17664                    // 000000005A98: DBFE4500 54000017
	ds_read_b128 a[88:91], v23 offset:26112                    // 000000005AA0: DBFE6600 58000017
	ds_read_b128 a[92:95], v23 offset:26368                    // 000000005AA8: DBFE6700 5C000017
	ds_read_b128 a[32:35], v22                                 // 000000005AB0: DBFE0000 20000016
	ds_read_b128 a[36:39], v22 offset:512                      // 000000005AB8: DBFE0200 24000016
	ds_read_b128 a[40:43], v22 offset:2176                     // 000000005AC0: DBFE0880 28000016
	ds_read_b128 a[44:47], v22 offset:2688                     // 000000005AC8: DBFE0A80 2C000016
	s_waitcnt vmcnt(32) lgkmcnt(0)                             // 000000005AD0: BF8C8070
	s_barrier                                                  // 000000005AD4: BF8A0000
	s_cmp_lt_i32 0, s72                                        // 000000005AD8: BF044880
	s_cbranch_scc1 label_0748                                  // 000000005ADC: BF850010
	v_mov_b32_e32 v152, 0                                      // 000000005AE0: 7F300280
	v_mov_b32_e32 v153, 0                                      // 000000005AE4: 7F320280
	v_mov_b32_e32 v154, 0                                      // 000000005AE8: 7F340280
	v_mov_b32_e32 v155, 0                                      // 000000005AEC: 7F360280
	v_mov_b32_e32 v156, 0                                      // 000000005AF0: 7F380280
	v_mov_b32_e32 v157, 0                                      // 000000005AF4: 7F3A0280
	v_mov_b32_e32 v158, 0                                      // 000000005AF8: 7F3C0280
	v_mov_b32_e32 v159, 0                                      // 000000005AFC: 7F3E0280
	v_mov_b32_e32 v160, 0                                      // 000000005B00: 7F400280
	v_mov_b32_e32 v161, 0                                      // 000000005B04: 7F420280
	v_mov_b32_e32 v162, 0                                      // 000000005B08: 7F440280
	v_mov_b32_e32 v163, 0                                      // 000000005B0C: 7F460280
	v_mov_b32_e32 v164, 0                                      // 000000005B10: 7F480280
	v_mov_b32_e32 v165, 0                                      // 000000005B14: 7F4A0280
	v_mov_b32_e32 v166, 0                                      // 000000005B18: 7F4C0280
	v_mov_b32_e32 v167, 0                                      // 000000005B1C: 7F4E0280

0000000000005b20 <label_0748>:
	ds_write_b32 v11, v152                                     // 000000005B20: D81A0000 0000980B
	ds_write_b32 v11, v153 offset:1056                         // 000000005B28: D81A0420 0000990B
	ds_write_b32 v11, v154 offset:128                          // 000000005B30: D81A0080 00009A0B
	ds_write_b32 v11, v155 offset:1184                         // 000000005B38: D81A04A0 00009B0B
	ds_write_b32 v11, v156 offset:4352                         // 000000005B40: D81A1100 00009C0B
	ds_write_b32 v11, v157 offset:5408                         // 000000005B48: D81A1520 00009D0B
	ds_write_b32 v11, v158 offset:4480                         // 000000005B50: D81A1180 00009E0B
	ds_write_b32 v11, v159 offset:5536                         // 000000005B58: D81A15A0 00009F0B
	ds_write_b32 v11, v160 offset:8704                         // 000000005B60: D81A2200 0000A00B
	ds_write_b32 v11, v161 offset:9760                         // 000000005B68: D81A2620 0000A10B
	ds_write_b32 v11, v162 offset:8832                         // 000000005B70: D81A2280 0000A20B
	ds_write_b32 v11, v163 offset:9888                         // 000000005B78: D81A26A0 0000A30B
	ds_write_b32 v11, v164 offset:13056                        // 000000005B80: D81A3300 0000A40B
	ds_write_b32 v11, v165 offset:14112                        // 000000005B88: D81A3720 0000A50B
	ds_write_b32 v11, v166 offset:13184                        // 000000005B90: D81A3380 0000A60B
	ds_write_b32 v11, v167 offset:14240                        // 000000005B98: D81A37A0 0000A70B
	s_mov_b32 s71, s5                                          // 000000005BA0: BEC70005
	v_lshrrev_b32_e32 v28, 4, v0                               // 000000005BA4: 20380084
	v_and_b32_e32 v29, 1, v28                                  // 000000005BA8: 263A3881
	v_lshlrev_b32_e32 v29, 1, v29                              // 000000005BAC: 243A3A81
	v_mul_i32_i24_e32 v29, s71, v29                            // 000000005BB0: 0C3A3A47
	v_and_b32_e32 v30, 2, v28                                  // 000000005BB4: 263C3882
	v_lshlrev_b32_e32 v30, 5, v30                              // 000000005BB8: 243C3C85
	v_add_u32_e32 v29, v30, v29                                // 000000005BBC: 683A3B1E
	v_and_b32_e32 v28, 15, v0                                  // 000000005BC0: 2638008F
	v_lshlrev_b32_e32 v28, 2, v28                              // 000000005BC4: 24383882
	v_add_u32_e32 v1, v28, v29                                 // 000000005BC8: 68023B1C
	s_and_b32 s60, 1, s46                                      // 000000005BCC: 863C2E81
	s_mul_i32 s60, s60, s71                                    // 000000005BD0: 923C473C
	s_mul_i32 s60, s60, 8                                      // 000000005BD4: 923C883C
	s_lshr_b32 s61, s46, 1                                     // 000000005BD8: 8F3D812E
	s_mul_i32 s61, s61, 0x80                                   // 000000005BDC: 923DFF3D 00000080
	s_add_u32 s60, s60, s61                                    // 000000005BE4: 803C3D3C
	v_add_u32_e32 v1, s60, v1                                  // 000000005BE8: 6802023C
	v_add_u32_e32 v2, s71, v1                                  // 000000005BEC: 68040247
	s_mul_i32 s60, 4, s71                                      // 000000005BF0: 923C4784
	v_add_u32_e32 v3, s60, v1                                  // 000000005BF4: 6806023C
	v_add_u32_e32 v4, s60, v2                                  // 000000005BF8: 6808043C
	s_mov_b32 s71, s51                                         // 000000005BFC: BEC70033
	v_lshrrev_b32_e32 v28, 4, v0                               // 000000005C00: 20380084
	v_and_b32_e32 v29, 1, v28                                  // 000000005C04: 263A3881
	v_lshlrev_b32_e32 v29, 1, v29                              // 000000005C08: 243A3A81
	v_mul_i32_i24_e32 v29, s71, v29                            // 000000005C0C: 0C3A3A47
	v_and_b32_e32 v30, 2, v28                                  // 000000005C10: 263C3882
	v_lshlrev_b32_e32 v30, 5, v30                              // 000000005C14: 243C3C85
	v_add_u32_e32 v29, v30, v29                                // 000000005C18: 683A3B1E
	v_and_b32_e32 v28, 15, v0                                  // 000000005C1C: 2638008F
	v_lshlrev_b32_e32 v28, 2, v28                              // 000000005C20: 24383882
	v_add_u32_e32 v248, v28, v29                               // 000000005C24: 69F03B1C
	s_and_b32 s60, 1, s46                                      // 000000005C28: 863C2E81
	s_mul_i32 s60, s60, s71                                    // 000000005C2C: 923C473C
	s_mul_i32 s60, s60, 8                                      // 000000005C30: 923C883C
	s_lshr_b32 s61, s46, 1                                     // 000000005C34: 8F3D812E
	s_mul_i32 s61, s61, 0x80                                   // 000000005C38: 923DFF3D 00000080
	s_add_u32 s60, s60, s61                                    // 000000005C40: 803C3D3C
	v_add_u32_e32 v248, s60, v248                              // 000000005C44: 69F1F03C
	v_add_u32_e32 v249, s71, v248                              // 000000005C48: 69F3F047
	s_mul_i32 s60, 4, s71                                      // 000000005C4C: 923C4784
	v_add_u32_e32 v250, s60, v248                              // 000000005C50: 69F5F03C
	v_add_u32_e32 v251, s60, v249                              // 000000005C54: 69F7F23C
	v_lshrrev_b32_e32 v1, 2, v1                                // 000000005C58: 20020282
	v_lshrrev_b32_e32 v2, 2, v2                                // 000000005C5C: 20040482
	v_lshrrev_b32_e32 v3, 2, v3                                // 000000005C60: 20060682
	v_lshrrev_b32_e32 v4, 2, v4                                // 000000005C64: 20080882
	v_lshrrev_b32_e32 v248, 2, v248                            // 000000005C68: 21F1F082
	v_lshrrev_b32_e32 v249, 2, v249                            // 000000005C6C: 21F3F282
	v_lshrrev_b32_e32 v250, 2, v250                            // 000000005C70: 21F5F482
	v_lshrrev_b32_e32 v251, 2, v251                            // 000000005C74: 21F7F682
	v_mov_b32_e32 v32, 0                                       // 000000005C78: 7E400280
	s_mov_b64 exec, s[80:81]                                   // 000000005C7C: BEFE0150
	buffer_load_dword v32, v1, s[8:11], 0 idxen                // 000000005C80: E0502000 80022001
	s_mov_b32 exec_lo, -1                                      // 000000005C88: BEFE00C1
	s_mov_b32 exec_hi, -1                                      // 000000005C8C: BEFF00C1
	v_mov_b32_e32 v33, 0                                       // 000000005C90: 7E420280
	s_mov_b64 exec, s[80:81]                                   // 000000005C94: BEFE0150
	buffer_load_dword v33, v2, s[8:11], 0 idxen                // 000000005C98: E0502000 80022102
	s_mov_b32 exec_lo, -1                                      // 000000005CA0: BEFE00C1
	s_mov_b32 exec_hi, -1                                      // 000000005CA4: BEFF00C1
	v_mov_b32_e32 v34, 0                                       // 000000005CA8: 7E440280
	s_mov_b64 exec, s[80:81]                                   // 000000005CAC: BEFE0150
	buffer_load_dword v34, v3, s[8:11], 0 idxen                // 000000005CB0: E0502000 80022203
	s_mov_b32 exec_lo, -1                                      // 000000005CB8: BEFE00C1
	s_mov_b32 exec_hi, -1                                      // 000000005CBC: BEFF00C1
	v_mov_b32_e32 v35, 0                                       // 000000005CC0: 7E460280
	s_mov_b64 exec, s[80:81]                                   // 000000005CC4: BEFE0150
	buffer_load_dword v35, v4, s[8:11], 0 idxen                // 000000005CC8: E0502000 80022304
	s_mov_b32 exec_lo, -1                                      // 000000005CD0: BEFE00C1
	s_mov_b32 exec_hi, -1                                      // 000000005CD4: BEFF00C1
	v_mov_b32_e32 v40, 0                                       // 000000005CD8: 7E500280
	s_mov_b64 exec, s[80:81]                                   // 000000005CDC: BEFE0150
	buffer_load_dword v40, v248, s[20:23], 0 idxen             // 000000005CE0: E0502000 800528F8
	s_mov_b32 exec_lo, -1                                      // 000000005CE8: BEFE00C1
	s_mov_b32 exec_hi, -1                                      // 000000005CEC: BEFF00C1
	v_mov_b32_e32 v41, 0                                       // 000000005CF0: 7E520280
	s_mov_b64 exec, s[80:81]                                   // 000000005CF4: BEFE0150
	buffer_load_dword v41, v249, s[20:23], 0 idxen             // 000000005CF8: E0502000 800529F9
	s_mov_b32 exec_lo, -1                                      // 000000005D00: BEFE00C1
	s_mov_b32 exec_hi, -1                                      // 000000005D04: BEFF00C1
	v_mov_b32_e32 v42, 0                                       // 000000005D08: 7E540280
	s_mov_b64 exec, s[80:81]                                   // 000000005D0C: BEFE0150
	buffer_load_dword v42, v250, s[20:23], 0 idxen             // 000000005D10: E0502000 80052AFA
	s_mov_b32 exec_lo, -1                                      // 000000005D18: BEFE00C1
	s_mov_b32 exec_hi, -1                                      // 000000005D1C: BEFF00C1
	v_mov_b32_e32 v43, 0                                       // 000000005D20: 7E560280
	s_mov_b64 exec, s[80:81]                                   // 000000005D24: BEFE0150
	buffer_load_dword v43, v251, s[20:23], 0 idxen             // 000000005D28: E0502000 80052BFB
	s_mov_b32 exec_lo, -1                                      // 000000005D30: BEFE00C1
	s_mov_b32 exec_hi, -1                                      // 000000005D34: BEFF00C1
	s_waitcnt lgkmcnt(0)                                       // 000000005D38: BF8CC07F
	s_barrier                                                  // 000000005D3C: BF8A0000
	ds_read_b128 a[96:99], v22                                 // 000000005D40: DBFE0000 60000016
	ds_read_b128 a[100:103], v22 offset:512                    // 000000005D48: DBFE0200 64000016
	ds_read_b128 a[104:107], v22 offset:2176                   // 000000005D50: DBFE0880 68000016
	ds_read_b128 a[108:111], v22 offset:2688                   // 000000005D58: DBFE0A80 6C000016
	v_add_u32_e32 v1, s68, v1                                  // 000000005D60: 68020244
	v_add_u32_e32 v2, s68, v2                                  // 000000005D64: 68040444
	v_add_u32_e32 v3, s68, v3                                  // 000000005D68: 68060644
	v_add_u32_e32 v4, s68, v4                                  // 000000005D6C: 68080844
	v_add_u32_e32 v248, s100, v248                             // 000000005D70: 69F1F064
	v_add_u32_e32 v249, s100, v249                             // 000000005D74: 69F3F264
	v_add_u32_e32 v250, s100, v250                             // 000000005D78: 69F5F464
	v_add_u32_e32 v251, s100, v251                             // 000000005D7C: 69F7F664
	s_waitcnt vmcnt(24) lgkmcnt(0)                             // 000000005D80: BF8C4078
	s_barrier                                                  // 000000005D84: BF8A0000
	s_cmp_lt_i32 1, s72                                        // 000000005D88: BF044881
	s_cbranch_scc1 label_07F4                                  // 000000005D8C: BF850010
	v_mov_b32_e32 v168, 0                                      // 000000005D90: 7F500280
	v_mov_b32_e32 v169, 0                                      // 000000005D94: 7F520280
	v_mov_b32_e32 v170, 0                                      // 000000005D98: 7F540280
	v_mov_b32_e32 v171, 0                                      // 000000005D9C: 7F560280
	v_mov_b32_e32 v172, 0                                      // 000000005DA0: 7F580280
	v_mov_b32_e32 v173, 0                                      // 000000005DA4: 7F5A0280
	v_mov_b32_e32 v174, 0                                      // 000000005DA8: 7F5C0280
	v_mov_b32_e32 v175, 0                                      // 000000005DAC: 7F5E0280
	v_mov_b32_e32 v176, 0                                      // 000000005DB0: 7F600280
	v_mov_b32_e32 v177, 0                                      // 000000005DB4: 7F620280
	v_mov_b32_e32 v178, 0                                      // 000000005DB8: 7F640280
	v_mov_b32_e32 v179, 0                                      // 000000005DBC: 7F660280
	v_mov_b32_e32 v180, 0                                      // 000000005DC0: 7F680280
	v_mov_b32_e32 v181, 0                                      // 000000005DC4: 7F6A0280
	v_mov_b32_e32 v182, 0                                      // 000000005DC8: 7F6C0280
	v_mov_b32_e32 v183, 0                                      // 000000005DCC: 7F6E0280

0000000000005dd0 <label_07F4>:
	ds_write_b32 v11, v168                                     // 000000005DD0: D81A0000 0000A80B
	ds_write_b32 v11, v169 offset:1056                         // 000000005DD8: D81A0420 0000A90B
	ds_write_b32 v11, v170 offset:128                          // 000000005DE0: D81A0080 0000AA0B
	ds_write_b32 v11, v171 offset:1184                         // 000000005DE8: D81A04A0 0000AB0B
	ds_write_b32 v11, v172 offset:4352                         // 000000005DF0: D81A1100 0000AC0B
	ds_write_b32 v11, v173 offset:5408                         // 000000005DF8: D81A1520 0000AD0B
	ds_write_b32 v11, v174 offset:4480                         // 000000005E00: D81A1180 0000AE0B
	ds_write_b32 v11, v175 offset:5536                         // 000000005E08: D81A15A0 0000AF0B
	ds_write_b32 v11, v176 offset:8704                         // 000000005E10: D81A2200 0000B00B
	ds_write_b32 v11, v177 offset:9760                         // 000000005E18: D81A2620 0000B10B
	ds_write_b32 v11, v178 offset:8832                         // 000000005E20: D81A2280 0000B20B
	ds_write_b32 v11, v179 offset:9888                         // 000000005E28: D81A26A0 0000B30B
	ds_write_b32 v11, v180 offset:13056                        // 000000005E30: D81A3300 0000B40B
	ds_write_b32 v11, v181 offset:14112                        // 000000005E38: D81A3720 0000B50B
	ds_write_b32 v11, v182 offset:13184                        // 000000005E40: D81A3380 0000B60B
	ds_write_b32 v11, v183 offset:14240                        // 000000005E48: D81A37A0 0000B70B
	v_mov_b32_e32 v36, 0                                       // 000000005E50: 7E480280
	s_mov_b64 exec, s[80:81]                                   // 000000005E54: BEFE0150
	buffer_load_dword v36, v1, s[8:11], 0 idxen                // 000000005E58: E0502000 80022401
	s_mov_b32 exec_lo, -1                                      // 000000005E60: BEFE00C1
	s_mov_b32 exec_hi, -1                                      // 000000005E64: BEFF00C1
	v_mov_b32_e32 v37, 0                                       // 000000005E68: 7E4A0280
	s_mov_b64 exec, s[80:81]                                   // 000000005E6C: BEFE0150
	buffer_load_dword v37, v2, s[8:11], 0 idxen                // 000000005E70: E0502000 80022502
	s_mov_b32 exec_lo, -1                                      // 000000005E78: BEFE00C1
	s_mov_b32 exec_hi, -1                                      // 000000005E7C: BEFF00C1
	v_mov_b32_e32 v38, 0                                       // 000000005E80: 7E4C0280
	s_mov_b64 exec, s[80:81]                                   // 000000005E84: BEFE0150
	buffer_load_dword v38, v3, s[8:11], 0 idxen                // 000000005E88: E0502000 80022603
	s_mov_b32 exec_lo, -1                                      // 000000005E90: BEFE00C1
	s_mov_b32 exec_hi, -1                                      // 000000005E94: BEFF00C1
	v_mov_b32_e32 v39, 0                                       // 000000005E98: 7E4E0280
	s_mov_b64 exec, s[80:81]                                   // 000000005E9C: BEFE0150
	buffer_load_dword v39, v4, s[8:11], 0 idxen                // 000000005EA0: E0502000 80022704
	s_mov_b32 exec_lo, -1                                      // 000000005EA8: BEFE00C1
	s_mov_b32 exec_hi, -1                                      // 000000005EAC: BEFF00C1
	v_mov_b32_e32 v44, 0                                       // 000000005EB0: 7E580280
	s_mov_b64 exec, s[80:81]                                   // 000000005EB4: BEFE0150
	buffer_load_dword v44, v248, s[20:23], 0 idxen             // 000000005EB8: E0502000 80052CF8
	s_mov_b32 exec_lo, -1                                      // 000000005EC0: BEFE00C1
	s_mov_b32 exec_hi, -1                                      // 000000005EC4: BEFF00C1
	v_mov_b32_e32 v45, 0                                       // 000000005EC8: 7E5A0280
	s_mov_b64 exec, s[80:81]                                   // 000000005ECC: BEFE0150
	buffer_load_dword v45, v249, s[20:23], 0 idxen             // 000000005ED0: E0502000 80052DF9
	s_mov_b32 exec_lo, -1                                      // 000000005ED8: BEFE00C1
	s_mov_b32 exec_hi, -1                                      // 000000005EDC: BEFF00C1
	v_mov_b32_e32 v46, 0                                       // 000000005EE0: 7E5C0280
	s_mov_b64 exec, s[80:81]                                   // 000000005EE4: BEFE0150
	buffer_load_dword v46, v250, s[20:23], 0 idxen             // 000000005EE8: E0502000 80052EFA
	s_mov_b32 exec_lo, -1                                      // 000000005EF0: BEFE00C1
	s_mov_b32 exec_hi, -1                                      // 000000005EF4: BEFF00C1
	v_mov_b32_e32 v47, 0                                       // 000000005EF8: 7E5E0280
	s_mov_b64 exec, s[80:81]                                   // 000000005EFC: BEFE0150
	buffer_load_dword v47, v251, s[20:23], 0 idxen             // 000000005F00: E0502000 80052FFB
	s_mov_b32 exec_lo, -1                                      // 000000005F08: BEFE00C1
	s_mov_b32 exec_hi, -1                                      // 000000005F0C: BEFF00C1
	s_waitcnt lgkmcnt(0)                                       // 000000005F10: BF8CC07F
	s_barrier                                                  // 000000005F14: BF8A0000
	ds_read_b128 a[112:115], v22                               // 000000005F18: DBFE0000 70000016
	ds_read_b128 a[116:119], v22 offset:512                    // 000000005F20: DBFE0200 74000016
	ds_read_b128 a[120:123], v22 offset:2176                   // 000000005F28: DBFE0880 78000016
	ds_read_b128 a[124:127], v22 offset:2688                   // 000000005F30: DBFE0A80 7C000016
	v_add_u32_e32 v1, s68, v1                                  // 000000005F38: 68020244
	v_add_u32_e32 v2, s68, v2                                  // 000000005F3C: 68040444
	v_add_u32_e32 v3, s68, v3                                  // 000000005F40: 68060644
	v_add_u32_e32 v4, s68, v4                                  // 000000005F44: 68080844
	v_add_u32_e32 v248, s100, v248                             // 000000005F48: 69F1F064
	v_add_u32_e32 v249, s100, v249                             // 000000005F4C: 69F3F264
	v_add_u32_e32 v250, s100, v250                             // 000000005F50: 69F5F464
	v_add_u32_e32 v251, s100, v251                             // 000000005F54: 69F7F664
	s_waitcnt vmcnt(16) lgkmcnt(0)                             // 000000005F58: BF8C4070
	s_barrier                                                  // 000000005F5C: BF8A0000
	s_cmp_lt_i32 2, s72                                        // 000000005F60: BF044882
	s_cbranch_scc1 label_086A                                  // 000000005F64: BF850010
	v_mov_b32_e32 v184, 0                                      // 000000005F68: 7F700280
	v_mov_b32_e32 v185, 0                                      // 000000005F6C: 7F720280
	v_mov_b32_e32 v186, 0                                      // 000000005F70: 7F740280
	v_mov_b32_e32 v187, 0                                      // 000000005F74: 7F760280
	v_mov_b32_e32 v188, 0                                      // 000000005F78: 7F780280
	v_mov_b32_e32 v189, 0                                      // 000000005F7C: 7F7A0280
	v_mov_b32_e32 v190, 0                                      // 000000005F80: 7F7C0280
	v_mov_b32_e32 v191, 0                                      // 000000005F84: 7F7E0280
	v_mov_b32_e32 v192, 0                                      // 000000005F88: 7F800280
	v_mov_b32_e32 v193, 0                                      // 000000005F8C: 7F820280
	v_mov_b32_e32 v194, 0                                      // 000000005F90: 7F840280
	v_mov_b32_e32 v195, 0                                      // 000000005F94: 7F860280
	v_mov_b32_e32 v196, 0                                      // 000000005F98: 7F880280
	v_mov_b32_e32 v197, 0                                      // 000000005F9C: 7F8A0280
	v_mov_b32_e32 v198, 0                                      // 000000005FA0: 7F8C0280
	v_mov_b32_e32 v199, 0                                      // 000000005FA4: 7F8E0280

0000000000005fa8 <label_086A>:
	ds_write_b32 v11, v184                                     // 000000005FA8: D81A0000 0000B80B
	ds_write_b32 v11, v185 offset:1056                         // 000000005FB0: D81A0420 0000B90B
	ds_write_b32 v11, v186 offset:128                          // 000000005FB8: D81A0080 0000BA0B
	ds_write_b32 v11, v187 offset:1184                         // 000000005FC0: D81A04A0 0000BB0B
	ds_write_b32 v11, v188 offset:4352                         // 000000005FC8: D81A1100 0000BC0B
	ds_write_b32 v11, v189 offset:5408                         // 000000005FD0: D81A1520 0000BD0B
	ds_write_b32 v11, v190 offset:4480                         // 000000005FD8: D81A1180 0000BE0B
	ds_write_b32 v11, v191 offset:5536                         // 000000005FE0: D81A15A0 0000BF0B
	ds_write_b32 v11, v192 offset:8704                         // 000000005FE8: D81A2200 0000C00B
	ds_write_b32 v11, v193 offset:9760                         // 000000005FF0: D81A2620 0000C10B
	ds_write_b32 v11, v194 offset:8832                         // 000000005FF8: D81A2280 0000C20B
	ds_write_b32 v11, v195 offset:9888                         // 000000006000: D81A26A0 0000C30B
	ds_write_b32 v11, v196 offset:13056                        // 000000006008: D81A3300 0000C40B
	ds_write_b32 v11, v197 offset:14112                        // 000000006010: D81A3720 0000C50B
	ds_write_b32 v11, v198 offset:13184                        // 000000006018: D81A3380 0000C60B
	ds_write_b32 v11, v199 offset:14240                        // 000000006020: D81A37A0 0000C70B
	s_waitcnt lgkmcnt(0)                                       // 000000006028: BF8CC07F
	s_barrier                                                  // 00000000602C: BF8A0000
	ds_read_b128 a[128:131], v22                               // 000000006030: DBFE0000 80000016
	ds_read_b128 a[132:135], v22 offset:512                    // 000000006038: DBFE0200 84000016
	ds_read_b128 a[136:139], v22 offset:2176                   // 000000006040: DBFE0880 88000016
	ds_read_b128 a[140:143], v22 offset:2688                   // 000000006048: DBFE0A80 8C000016
	s_waitcnt vmcnt(8) lgkmcnt(0)                              // 000000006050: BF8C0078
	s_barrier                                                  // 000000006054: BF8A0000
	buffer_load_dword v9, s[24:27], 0 idxen lds                // 000000006058: E0512000 80060009
	s_mov_b32 m0, s79                                          // 000000006060: BEFC004F
	v_add_u32_e32 v9, s69, v9                                  // 000000006064: 68121245
	v_perm_b32 v84, v33, v32, s63                              // 000000006068: D1ED0054 00FE4121
	v_perm_b32 v85, v33, v32, s64                              // 000000006070: D1ED0055 01024121
	v_perm_b32 v86, v35, v34, s63                              // 000000006078: D1ED0056 00FE4523
	v_perm_b32 v87, v35, v34, s64                              // 000000006080: D1ED0057 01024523
	ds_write_b32 v13, v84 offset:4352                          // 000000006088: D81A1100 0000540D
	ds_write_b32 v13, v85 offset:5408                          // 000000006090: D81A1520 0000550D
	ds_write_b32 v13, v86 offset:4480                          // 000000006098: D81A1180 0000560D
	ds_write_b32 v13, v87 offset:5536                          // 0000000060A0: D81A15A0 0000570D
	ds_write_b32 v11, v32                                      // 0000000060A8: D81A0000 0000200B
	ds_write_b32 v11, v33 offset:1056                          // 0000000060B0: D81A0420 0000210B
	ds_write_b32 v11, v34 offset:128                           // 0000000060B8: D81A0080 0000220B
	ds_write_b32 v11, v35 offset:1184                          // 0000000060C0: D81A04A0 0000230B
	buffer_load_dword v9, s[24:27], 0 idxen lds                // 0000000060C8: E0512000 80060009
	s_mov_b32 m0, s78                                          // 0000000060D0: BEFC004E
	v_add_u32_e32 v9, s69, v9                                  // 0000000060D4: 68121245
	v_perm_b32 v88, v41, v40, s63                              // 0000000060D8: D1ED0058 00FE5129
	v_perm_b32 v89, v41, v40, s64                              // 0000000060E0: D1ED0059 01025129
	v_perm_b32 v90, v43, v42, s63                              // 0000000060E8: D1ED005A 00FE552B
	v_perm_b32 v91, v43, v42, s64                              // 0000000060F0: D1ED005B 0102552B
	ds_write_b32 v13, v88 offset:13056                         // 0000000060F8: D81A3300 0000580D
	ds_write_b32 v13, v89 offset:14112                         // 000000006100: D81A3720 0000590D
	ds_write_b32 v13, v90 offset:13184                         // 000000006108: D81A3380 00005A0D
	ds_write_b32 v13, v91 offset:14240                         // 000000006110: D81A37A0 00005B0D
	ds_write_b32 v11, v40 offset:8704                          // 000000006118: D81A2200 0000280B
	ds_write_b32 v11, v41 offset:9760                          // 000000006120: D81A2620 0000290B
	ds_write_b32 v11, v42 offset:8832                          // 000000006128: D81A2280 00002A0B
	ds_write_b32 v11, v43 offset:9888                          // 000000006130: D81A26A0 00002B0B
	s_waitcnt vmcnt(1) lgkmcnt(0)                              // 000000006138: BF8C0071
	s_barrier                                                  // 00000000613C: BF8A0000
	ds_read_b128 a[144:147], v10                               // 000000006140: DBFE0000 9000000A
	ds_read_b128 a[148:151], v10 offset:512                    // 000000006148: DBFE0200 9400000A
	ds_read_b128 a[152:155], v10 offset:2176                   // 000000006150: DBFE0880 9800000A
	ds_read_b128 a[156:159], v10 offset:2688                   // 000000006158: DBFE0A80 9C00000A
	ds_read_b128 v[92:95], v10 offset:8704                     // 000000006160: D9FE2200 5C00000A
	ds_read_b128 v[96:99], v10 offset:9216                     // 000000006168: D9FE2400 6000000A
	ds_read_b128 v[100:103], v10 offset:10880                  // 000000006170: D9FE2A80 6400000A
	ds_read_b128 v[104:107], v10 offset:11392                  // 000000006178: D9FE2C80 6800000A
	ds_read_b32 v124, v21 offset:50688                         // 000000006180: D86CC600 7C000015
	ds_read_b32 v150, v21 offset:50944                         // 000000006188: D86CC700 96000015
	v_accvgpr_write_b32 a160, 0                                // 000000006190: D3D940A0 18000080
	v_mov_b32_e32 v152, 0                                      // 000000006198: 7F300280
	v_accvgpr_write_b32 a161, 0                                // 00000000619C: D3D940A1 18000080
	v_mov_b32_e32 v153, 0                                      // 0000000061A4: 7F320280
	v_accvgpr_write_b32 a162, 0                                // 0000000061A8: D3D940A2 18000080
	v_mov_b32_e32 v154, 0                                      // 0000000061B0: 7F340280
	v_accvgpr_write_b32 a163, 0                                // 0000000061B4: D3D940A3 18000080
	v_mov_b32_e32 v155, 0                                      // 0000000061BC: 7F360280
	v_accvgpr_write_b32 a164, 0                                // 0000000061C0: D3D940A4 18000080
	v_mov_b32_e32 v156, 0                                      // 0000000061C8: 7F380280
	v_accvgpr_write_b32 a165, 0                                // 0000000061CC: D3D940A5 18000080
	v_mov_b32_e32 v157, 0                                      // 0000000061D4: 7F3A0280
	v_accvgpr_write_b32 a166, 0                                // 0000000061D8: D3D940A6 18000080
	v_mov_b32_e32 v158, 0                                      // 0000000061E0: 7F3C0280
	v_accvgpr_write_b32 a167, 0                                // 0000000061E4: D3D940A7 18000080
	v_mov_b32_e32 v159, 0                                      // 0000000061EC: 7F3E0280
	v_accvgpr_write_b32 a168, 0                                // 0000000061F0: D3D940A8 18000080
	v_mov_b32_e32 v160, 0                                      // 0000000061F8: 7F400280
	v_accvgpr_write_b32 a169, 0                                // 0000000061FC: D3D940A9 18000080
	v_mov_b32_e32 v161, 0                                      // 000000006204: 7F420280
	v_accvgpr_write_b32 a170, 0                                // 000000006208: D3D940AA 18000080
	v_mov_b32_e32 v162, 0                                      // 000000006210: 7F440280
	v_accvgpr_write_b32 a171, 0                                // 000000006214: D3D940AB 18000080
	v_mov_b32_e32 v163, 0                                      // 00000000621C: 7F460280
	v_accvgpr_write_b32 a172, 0                                // 000000006220: D3D940AC 18000080
	v_mov_b32_e32 v164, 0                                      // 000000006228: 7F480280
	v_accvgpr_write_b32 a173, 0                                // 00000000622C: D3D940AD 18000080
	v_mov_b32_e32 v165, 0                                      // 000000006234: 7F4A0280
	v_accvgpr_write_b32 a174, 0                                // 000000006238: D3D940AE 18000080
	v_mov_b32_e32 v166, 0                                      // 000000006240: 7F4C0280
	v_accvgpr_write_b32 a175, 0                                // 000000006244: D3D940AF 18000080
	v_mov_b32_e32 v167, 0                                      // 00000000624C: 7F4E0280
	v_accvgpr_write_b32 a176, 0                                // 000000006250: D3D940B0 18000080
	v_mov_b32_e32 v168, 0                                      // 000000006258: 7F500280
	v_accvgpr_write_b32 a177, 0                                // 00000000625C: D3D940B1 18000080
	v_mov_b32_e32 v169, 0                                      // 000000006264: 7F520280
	v_accvgpr_write_b32 a178, 0                                // 000000006268: D3D940B2 18000080
	v_mov_b32_e32 v170, 0                                      // 000000006270: 7F540280
	v_accvgpr_write_b32 a179, 0                                // 000000006274: D3D940B3 18000080
	v_mov_b32_e32 v171, 0                                      // 00000000627C: 7F560280
	v_accvgpr_write_b32 a180, 0                                // 000000006280: D3D940B4 18000080
	v_mov_b32_e32 v172, 0                                      // 000000006288: 7F580280
	v_accvgpr_write_b32 a181, 0                                // 00000000628C: D3D940B5 18000080
	v_mov_b32_e32 v173, 0                                      // 000000006294: 7F5A0280
	v_accvgpr_write_b32 a182, 0                                // 000000006298: D3D940B6 18000080
	v_mov_b32_e32 v174, 0                                      // 0000000062A0: 7F5C0280
	v_accvgpr_write_b32 a183, 0                                // 0000000062A4: D3D940B7 18000080
	v_mov_b32_e32 v175, 0                                      // 0000000062AC: 7F5E0280
	v_accvgpr_write_b32 a184, 0                                // 0000000062B0: D3D940B8 18000080
	v_mov_b32_e32 v176, 0                                      // 0000000062B8: 7F600280
	v_accvgpr_write_b32 a185, 0                                // 0000000062BC: D3D940B9 18000080
	v_mov_b32_e32 v177, 0                                      // 0000000062C4: 7F620280
	v_accvgpr_write_b32 a186, 0                                // 0000000062C8: D3D940BA 18000080
	v_mov_b32_e32 v178, 0                                      // 0000000062D0: 7F640280
	v_accvgpr_write_b32 a187, 0                                // 0000000062D4: D3D940BB 18000080
	v_mov_b32_e32 v179, 0                                      // 0000000062DC: 7F660280
	v_accvgpr_write_b32 a188, 0                                // 0000000062E0: D3D940BC 18000080
	v_mov_b32_e32 v180, 0                                      // 0000000062E8: 7F680280
	v_accvgpr_write_b32 a189, 0                                // 0000000062EC: D3D940BD 18000080
	v_mov_b32_e32 v181, 0                                      // 0000000062F4: 7F6A0280
	v_accvgpr_write_b32 a190, 0                                // 0000000062F8: D3D940BE 18000080
	v_mov_b32_e32 v182, 0                                      // 000000006300: 7F6C0280
	v_accvgpr_write_b32 a191, 0                                // 000000006304: D3D940BF 18000080
	v_mov_b32_e32 v183, 0                                      // 00000000630C: 7F6E0280
	v_accvgpr_write_b32 a192, 0                                // 000000006310: D3D940C0 18000080
	v_mov_b32_e32 v184, 0                                      // 000000006318: 7F700280
	v_accvgpr_write_b32 a193, 0                                // 00000000631C: D3D940C1 18000080
	v_mov_b32_e32 v185, 0                                      // 000000006324: 7F720280
	v_accvgpr_write_b32 a194, 0                                // 000000006328: D3D940C2 18000080
	v_mov_b32_e32 v186, 0                                      // 000000006330: 7F740280
	v_accvgpr_write_b32 a195, 0                                // 000000006334: D3D940C3 18000080
	v_mov_b32_e32 v187, 0                                      // 00000000633C: 7F760280
	v_accvgpr_write_b32 a196, 0                                // 000000006340: D3D940C4 18000080
	v_mov_b32_e32 v188, 0                                      // 000000006348: 7F780280
	v_accvgpr_write_b32 a197, 0                                // 00000000634C: D3D940C5 18000080
	v_mov_b32_e32 v189, 0                                      // 000000006354: 7F7A0280
	v_accvgpr_write_b32 a198, 0                                // 000000006358: D3D940C6 18000080
	v_mov_b32_e32 v190, 0                                      // 000000006360: 7F7C0280
	v_accvgpr_write_b32 a199, 0                                // 000000006364: D3D940C7 18000080
	v_mov_b32_e32 v191, 0                                      // 00000000636C: 7F7E0280
	v_accvgpr_write_b32 a200, 0                                // 000000006370: D3D940C8 18000080
	v_mov_b32_e32 v192, 0                                      // 000000006378: 7F800280
	v_accvgpr_write_b32 a201, 0                                // 00000000637C: D3D940C9 18000080
	v_mov_b32_e32 v193, 0                                      // 000000006384: 7F820280
	v_accvgpr_write_b32 a202, 0                                // 000000006388: D3D940CA 18000080
	v_mov_b32_e32 v194, 0                                      // 000000006390: 7F840280
	v_accvgpr_write_b32 a203, 0                                // 000000006394: D3D940CB 18000080
	v_mov_b32_e32 v195, 0                                      // 00000000639C: 7F860280
	v_accvgpr_write_b32 a204, 0                                // 0000000063A0: D3D940CC 18000080
	v_mov_b32_e32 v196, 0                                      // 0000000063A8: 7F880280
	v_accvgpr_write_b32 a205, 0                                // 0000000063AC: D3D940CD 18000080
	v_mov_b32_e32 v197, 0                                      // 0000000063B4: 7F8A0280
	v_accvgpr_write_b32 a206, 0                                // 0000000063B8: D3D940CE 18000080
	v_mov_b32_e32 v198, 0                                      // 0000000063C0: 7F8C0280
	v_accvgpr_write_b32 a207, 0                                // 0000000063C4: D3D940CF 18000080
	v_mov_b32_e32 v199, 0                                      // 0000000063CC: 7F8E0280
	v_accvgpr_write_b32 a208, 0                                // 0000000063D0: D3D940D0 18000080
	v_mov_b32_e32 v200, 0                                      // 0000000063D8: 7F900280
	v_accvgpr_write_b32 a209, 0                                // 0000000063DC: D3D940D1 18000080
	v_mov_b32_e32 v201, 0                                      // 0000000063E4: 7F920280
	v_accvgpr_write_b32 a210, 0                                // 0000000063E8: D3D940D2 18000080
	v_mov_b32_e32 v202, 0                                      // 0000000063F0: 7F940280
	v_accvgpr_write_b32 a211, 0                                // 0000000063F4: D3D940D3 18000080
	v_mov_b32_e32 v203, 0                                      // 0000000063FC: 7F960280
	v_accvgpr_write_b32 a212, 0                                // 000000006400: D3D940D4 18000080
	v_mov_b32_e32 v204, 0                                      // 000000006408: 7F980280
	v_accvgpr_write_b32 a213, 0                                // 00000000640C: D3D940D5 18000080
	v_mov_b32_e32 v205, 0                                      // 000000006414: 7F9A0280
	v_accvgpr_write_b32 a214, 0                                // 000000006418: D3D940D6 18000080
	v_mov_b32_e32 v206, 0                                      // 000000006420: 7F9C0280
	v_accvgpr_write_b32 a215, 0                                // 000000006424: D3D940D7 18000080
	v_mov_b32_e32 v207, 0                                      // 00000000642C: 7F9E0280
	v_accvgpr_write_b32 a216, 0                                // 000000006430: D3D940D8 18000080
	v_mov_b32_e32 v208, 0                                      // 000000006438: 7FA00280
	v_accvgpr_write_b32 a217, 0                                // 00000000643C: D3D940D9 18000080
	v_mov_b32_e32 v209, 0                                      // 000000006444: 7FA20280
	v_accvgpr_write_b32 a218, 0                                // 000000006448: D3D940DA 18000080
	v_mov_b32_e32 v210, 0                                      // 000000006450: 7FA40280
	v_accvgpr_write_b32 a219, 0                                // 000000006454: D3D940DB 18000080
	v_mov_b32_e32 v211, 0                                      // 00000000645C: 7FA60280
	v_accvgpr_write_b32 a220, 0                                // 000000006460: D3D940DC 18000080
	v_mov_b32_e32 v212, 0                                      // 000000006468: 7FA80280
	v_accvgpr_write_b32 a221, 0                                // 00000000646C: D3D940DD 18000080
	v_mov_b32_e32 v213, 0                                      // 000000006474: 7FAA0280
	v_accvgpr_write_b32 a222, 0                                // 000000006478: D3D940DE 18000080
	v_mov_b32_e32 v214, 0                                      // 000000006480: 7FAC0280
	v_accvgpr_write_b32 a223, 0                                // 000000006484: D3D940DF 18000080
	v_mov_b32_e32 v215, 0                                      // 00000000648C: 7FAE0280
	v_accvgpr_write_b32 a224, 0                                // 000000006490: D3D940E0 18000080
	v_mov_b32_e32 v216, 0                                      // 000000006498: 7FB00280
	v_accvgpr_write_b32 a225, 0                                // 00000000649C: D3D940E1 18000080
	v_mov_b32_e32 v217, 0                                      // 0000000064A4: 7FB20280
	v_accvgpr_write_b32 a226, 0                                // 0000000064A8: D3D940E2 18000080
	v_mov_b32_e32 v218, 0                                      // 0000000064B0: 7FB40280
	v_accvgpr_write_b32 a227, 0                                // 0000000064B4: D3D940E3 18000080
	v_mov_b32_e32 v219, 0                                      // 0000000064BC: 7FB60280
	v_accvgpr_write_b32 a228, 0                                // 0000000064C0: D3D940E4 18000080
	v_mov_b32_e32 v220, 0                                      // 0000000064C8: 7FB80280
	v_accvgpr_write_b32 a229, 0                                // 0000000064CC: D3D940E5 18000080
	v_mov_b32_e32 v221, 0                                      // 0000000064D4: 7FBA0280
	v_accvgpr_write_b32 a230, 0                                // 0000000064D8: D3D940E6 18000080
	v_mov_b32_e32 v222, 0                                      // 0000000064E0: 7FBC0280
	v_accvgpr_write_b32 a231, 0                                // 0000000064E4: D3D940E7 18000080
	v_mov_b32_e32 v223, 0                                      // 0000000064EC: 7FBE0280
	v_accvgpr_write_b32 a232, 0                                // 0000000064F0: D3D940E8 18000080
	v_mov_b32_e32 v224, 0                                      // 0000000064F8: 7FC00280
	v_accvgpr_write_b32 a233, 0                                // 0000000064FC: D3D940E9 18000080
	v_mov_b32_e32 v225, 0                                      // 000000006504: 7FC20280
	v_accvgpr_write_b32 a234, 0                                // 000000006508: D3D940EA 18000080
	v_mov_b32_e32 v226, 0                                      // 000000006510: 7FC40280
	v_accvgpr_write_b32 a235, 0                                // 000000006514: D3D940EB 18000080
	v_mov_b32_e32 v227, 0                                      // 00000000651C: 7FC60280
	v_accvgpr_write_b32 a236, 0                                // 000000006520: D3D940EC 18000080
	v_mov_b32_e32 v228, 0                                      // 000000006528: 7FC80280
	v_accvgpr_write_b32 a237, 0                                // 00000000652C: D3D940ED 18000080
	v_mov_b32_e32 v229, 0                                      // 000000006534: 7FCA0280
	v_accvgpr_write_b32 a238, 0                                // 000000006538: D3D940EE 18000080
	v_mov_b32_e32 v230, 0                                      // 000000006540: 7FCC0280
	v_accvgpr_write_b32 a239, 0                                // 000000006544: D3D940EF 18000080
	v_mov_b32_e32 v231, 0                                      // 00000000654C: 7FCE0280
	v_accvgpr_write_b32 a240, 0                                // 000000006550: D3D940F0 18000080
	v_mov_b32_e32 v232, 0                                      // 000000006558: 7FD00280
	v_accvgpr_write_b32 a241, 0                                // 00000000655C: D3D940F1 18000080
	v_mov_b32_e32 v233, 0                                      // 000000006564: 7FD20280
	v_accvgpr_write_b32 a242, 0                                // 000000006568: D3D940F2 18000080
	v_mov_b32_e32 v234, 0                                      // 000000006570: 7FD40280
	v_accvgpr_write_b32 a243, 0                                // 000000006574: D3D940F3 18000080
	v_mov_b32_e32 v235, 0                                      // 00000000657C: 7FD60280
	v_accvgpr_write_b32 a244, 0                                // 000000006580: D3D940F4 18000080
	v_mov_b32_e32 v236, 0                                      // 000000006588: 7FD80280
	v_accvgpr_write_b32 a245, 0                                // 00000000658C: D3D940F5 18000080
	v_mov_b32_e32 v237, 0                                      // 000000006594: 7FDA0280
	v_accvgpr_write_b32 a246, 0                                // 000000006598: D3D940F6 18000080
	v_mov_b32_e32 v238, 0                                      // 0000000065A0: 7FDC0280
	v_accvgpr_write_b32 a247, 0                                // 0000000065A4: D3D940F7 18000080
	v_mov_b32_e32 v239, 0                                      // 0000000065AC: 7FDE0280
	v_accvgpr_write_b32 a248, 0                                // 0000000065B0: D3D940F8 18000080
	v_mov_b32_e32 v240, 0                                      // 0000000065B8: 7FE00280
	v_accvgpr_write_b32 a249, 0                                // 0000000065BC: D3D940F9 18000080
	v_mov_b32_e32 v241, 0                                      // 0000000065C4: 7FE20280
	v_accvgpr_write_b32 a250, 0                                // 0000000065C8: D3D940FA 18000080
	v_mov_b32_e32 v242, 0                                      // 0000000065D0: 7FE40280
	v_accvgpr_write_b32 a251, 0                                // 0000000065D4: D3D940FB 18000080
	v_mov_b32_e32 v243, 0                                      // 0000000065DC: 7FE60280
	v_accvgpr_write_b32 a252, 0                                // 0000000065E0: D3D940FC 18000080
	v_mov_b32_e32 v244, 0                                      // 0000000065E8: 7FE80280
	v_accvgpr_write_b32 a253, 0                                // 0000000065EC: D3D940FD 18000080
	v_mov_b32_e32 v245, 0                                      // 0000000065F4: 7FEA0280
	v_accvgpr_write_b32 a254, 0                                // 0000000065F8: D3D940FE 18000080
	v_mov_b32_e32 v246, 0                                      // 000000006600: 7FEC0280
	v_accvgpr_write_b32 a255, 0                                // 000000006604: D3D940FF 18000080
	v_mov_b32_e32 v247, 0                                      // 00000000660C: 7FEE0280
	v_mov_b32_e32 v136, 0                                      // 000000006610: 7F100280
	v_mov_b32_e32 v137, 0                                      // 000000006614: 7F120280
	v_mov_b32_e32 v138, 0                                      // 000000006618: 7F140280
	v_mov_b32_e32 v139, 0                                      // 00000000661C: 7F160280
	v_mov_b32_e32 v140, 0                                      // 000000006620: 7F180280
	v_mov_b32_e32 v141, 0                                      // 000000006624: 7F1A0280
	v_mov_b32_e32 v142, 0                                      // 000000006628: 7F1C0280
	v_mov_b32_e32 v143, 0                                      // 00000000662C: 7F1E0280
	v_mov_b32_e32 v128, 0                                      // 000000006630: 7F000280
	v_mov_b32_e32 v129, 0                                      // 000000006634: 7F020280
	v_mov_b32_e32 v130, 0                                      // 000000006638: 7F040280
	v_mov_b32_e32 v131, 0                                      // 00000000663C: 7F060280
	v_mov_b32_e32 v132, 0                                      // 000000006640: 7F080280
	v_mov_b32_e32 v133, 0                                      // 000000006644: 7F0A0280
	v_mov_b32_e32 v134, 0                                      // 000000006648: 7F0C0280
	v_mov_b32_e32 v135, 0                                      // 00000000664C: 7F0E0280
	s_waitcnt lgkmcnt(0)                                       // 000000006650: BF8CC07F
	s_barrier                                                  // 000000006654: BF8A0000
	v_mov_b32_e32 v32, 0                                       // 000000006658: 7E400280
	s_mov_b64 exec, s[80:81]                                   // 00000000665C: BEFE0150
	buffer_load_dword v32, v1, s[8:11], 0 idxen                // 000000006660: E0502000 80022001
	s_mov_b32 exec_lo, -1                                      // 000000006668: BEFE00C1
	s_mov_b32 exec_hi, -1                                      // 00000000666C: BEFF00C1
	v_mov_b32_e32 v33, 0                                       // 000000006670: 7E420280
	s_mov_b64 exec, s[80:81]                                   // 000000006674: BEFE0150
	buffer_load_dword v33, v2, s[8:11], 0 idxen                // 000000006678: E0502000 80022102
	s_mov_b32 exec_lo, -1                                      // 000000006680: BEFE00C1
	s_mov_b32 exec_hi, -1                                      // 000000006684: BEFF00C1
	v_mov_b32_e32 v34, 0                                       // 000000006688: 7E440280
	s_mov_b64 exec, s[80:81]                                   // 00000000668C: BEFE0150
	buffer_load_dword v34, v3, s[8:11], 0 idxen                // 000000006690: E0502000 80022203
	s_mov_b32 exec_lo, -1                                      // 000000006698: BEFE00C1
	s_mov_b32 exec_hi, -1                                      // 00000000669C: BEFF00C1
	v_mov_b32_e32 v35, 0                                       // 0000000066A0: 7E460280
	s_mov_b64 exec, s[80:81]                                   // 0000000066A4: BEFE0150
	buffer_load_dword v35, v4, s[8:11], 0 idxen                // 0000000066A8: E0502000 80022304
	s_mov_b32 exec_lo, -1                                      // 0000000066B0: BEFE00C1
	s_mov_b32 exec_hi, -1                                      // 0000000066B4: BEFF00C1
	v_mov_b32_e32 v40, 0                                       // 0000000066B8: 7E500280
	s_mov_b64 exec, s[80:81]                                   // 0000000066BC: BEFE0150
	buffer_load_dword v40, v248, s[20:23], 0 idxen             // 0000000066C0: E0502000 800528F8
	s_mov_b32 exec_lo, -1                                      // 0000000066C8: BEFE00C1
	s_mov_b32 exec_hi, -1                                      // 0000000066CC: BEFF00C1
	v_mov_b32_e32 v41, 0                                       // 0000000066D0: 7E520280
	s_mov_b64 exec, s[80:81]                                   // 0000000066D4: BEFE0150
	buffer_load_dword v41, v249, s[20:23], 0 idxen             // 0000000066D8: E0502000 800529F9
	s_mov_b32 exec_lo, -1                                      // 0000000066E0: BEFE00C1
	s_mov_b32 exec_hi, -1                                      // 0000000066E4: BEFF00C1
	v_mov_b32_e32 v42, 0                                       // 0000000066E8: 7E540280
	s_mov_b64 exec, s[80:81]                                   // 0000000066EC: BEFE0150
	buffer_load_dword v42, v250, s[20:23], 0 idxen             // 0000000066F0: E0502000 80052AFA
	s_mov_b32 exec_lo, -1                                      // 0000000066F8: BEFE00C1
	s_mov_b32 exec_hi, -1                                      // 0000000066FC: BEFF00C1
	v_mov_b32_e32 v43, 0                                       // 000000006700: 7E560280
	s_mov_b64 exec, s[80:81]                                   // 000000006704: BEFE0150
	buffer_load_dword v43, v251, s[20:23], 0 idxen             // 000000006708: E0502000 80052BFB
	s_mov_b32 exec_lo, -1                                      // 000000006710: BEFE00C1
	s_mov_b32 exec_hi, -1                                      // 000000006714: BEFF00C1
	buffer_load_dword v9, s[24:27], 0 idxen lds                // 000000006718: E0512000 80060009
	s_mov_b32 m0, s79                                          // 000000006720: BEFC004F
	v_add_u32_e32 v9, s69, v9                                  // 000000006724: 68121245
	v_add_u32_e32 v1, s68, v1                                  // 000000006728: 68020244
	v_add_u32_e32 v2, s68, v2                                  // 00000000672C: 68040444
	v_add_u32_e32 v3, s68, v3                                  // 000000006730: 68060644
	v_add_u32_e32 v4, s68, v4                                  // 000000006734: 68080844
	v_add_u32_e32 v248, s100, v248                             // 000000006738: 69F1F064
	v_add_u32_e32 v249, s100, v249                             // 00000000673C: 69F3F264
	v_add_u32_e32 v250, s100, v250                             // 000000006740: 69F5F464
	v_add_u32_e32 v251, s100, v251                             // 000000006744: 69F7F664
	v_mul_f32_e32 v124, s48, v124                              // 000000006748: 0AF8F830
	v_perm_b32 v84, v37, v36, s63                              // 00000000674C: D1ED0054 00FE4925
	v_perm_b32 v85, v37, v36, s64                              // 000000006754: D1ED0055 01024925
	v_perm_b32 v86, v39, v38, s63                              // 00000000675C: D1ED0056 00FE4D27
	v_perm_b32 v87, v39, v38, s64                              // 000000006764: D1ED0057 01024D27
	v_perm_b32 v88, v45, v44, s63                              // 00000000676C: D1ED0058 00FE592D
	v_perm_b32 v89, v45, v44, s64                              // 000000006774: D1ED0059 0102592D
	v_perm_b32 v90, v47, v46, s63                              // 00000000677C: D1ED005A 00FE5D2F
	v_perm_b32 v91, v47, v46, s64                              // 000000006784: D1ED005B 01025D2F
	v_mov_b32_dpp v127, v124 quad_perm:[3,3,3,3] row_mask:0xf bank_mask:0xf// 00000000678C: 7EFE02FA FF00FF7C
	v_mov_b32_dpp v126, v124 quad_perm:[2,2,2,2] row_mask:0xf bank_mask:0xf// 000000006794: 7EFC02FA FF00AA7C
	v_mov_b32_dpp v125, v124 quad_perm:[1,1,1,1] row_mask:0xf bank_mask:0xf// 00000000679C: 7EFA02FA FF00557C
	v_mov_b32_dpp v124, v124 quad_perm:[0,0,0,0] row_mask:0xf bank_mask:0xf// 0000000067A4: 7EF802FA FF00007C
	s_waitcnt vmcnt(9)                                         // 0000000067AC: BF8C0F79
	s_barrier                                                  // 0000000067B0: BF8A0000
	s_cmp_lt_i32 s46, 2                                        // 0000000067B4: BF04822E
	s_cbranch_scc0 label_10CB                                  // 0000000067B8: BF840652

00000000000067bc <label_0A6F>:
	s_waitcnt lgkmcnt(0)                                       // 0000000067BC: BF8CC07F
	s_barrier                                                  // 0000000067C0: BF8A0000
	v_mfma_f32_16x16x16_f16 v[48:51], a[144:145], a[0:1], 0    // 0000000067C4: D3CD0030 1A020190
	ds_write_b32 v11, v44 offset:8704                          // 0000000067CC: D81A2200 00002C0B
	ds_write_b32 v11, v45 offset:9760                          // 0000000067D4: D81A2620 00002D0B
	v_mfma_f32_16x16x16_f16 v[48:51], a[146:147], a[2:3], v[48:51]// 0000000067DC: D3CD0030 1CC20592
	v_mul_f32_e32 v128, s47, v128                              // 0000000067E4: 0B01002F
	v_mul_f32_e32 v129, s47, v129                              // 0000000067E8: 0B03022F
	v_mfma_f32_16x16x16_f16 v[48:51], a[148:149], a[4:5], v[48:51]// 0000000067EC: D3CD0030 1CC20994
	ds_write_b32 v11, v46 offset:8832                          // 0000000067F4: D81A2280 00002E0B
	ds_write_b32 v11, v47 offset:9888                          // 0000000067FC: D81A26A0 00002F0B
	v_mfma_f32_16x16x16_f16 v[48:51], a[150:151], a[6:7], v[48:51]// 000000006804: D3CD0030 1CC20D96
	v_mul_f32_e32 v130, s47, v130                              // 00000000680C: 0B05042F
	v_mul_f32_e32 v131, s47, v131                              // 000000006810: 0B07062F
	v_mfma_f32_16x16x16_f16 v[48:51], a[152:153], a[8:9], v[48:51]// 000000006814: D3CD0030 1CC21198
	ds_write_b64 v20, v[128:129] offset:24320                  // 00000000681C: D89A5F00 00008014
	v_mfma_f32_16x16x16_f16 v[48:51], a[154:155], a[10:11], v[48:51]// 000000006824: D3CD0030 1CC2159A
	v_mul_f32_e32 v132, s47, v132                              // 00000000682C: 0B09082F
	v_mul_f32_e32 v133, s47, v133                              // 000000006830: 0B0B0A2F
	v_mfma_f32_16x16x16_f16 v[48:51], a[156:157], a[12:13], v[48:51]// 000000006834: D3CD0030 1CC2199C
	ds_write_b64 v20, v[130:131] offset:24832                  // 00000000683C: D89A6100 00008214
	v_mfma_f32_16x16x16_f16 v[48:51], a[158:159], a[14:15], v[48:51]// 000000006844: D3CD0030 1CC21D9E
	v_mul_f32_e32 v134, s47, v134                              // 00000000684C: 0B0D0C2F
	v_mul_f32_e32 v135, s47, v135                              // 000000006850: 0B0F0E2F
	v_mfma_f32_16x16x16_f16 v[52:55], a[144:145], a[16:17], 0  // 000000006854: D3CD0034 1A022190
	ds_write_b64 v20, v[132:133] offset:25344                  // 00000000685C: D89A6300 00008414
	v_mfma_f32_16x16x16_f16 v[52:55], a[146:147], a[18:19], v[52:55]// 000000006864: D3CD0034 1CD22592
	buffer_atomic_add_f32 v140, v7, s[32:35], 0 offen offset:256// 00000000686C: E1341100 80088C07
	v_mfma_f32_16x16x16_f16 v[52:55], a[148:149], a[20:21], v[52:55]// 000000006874: D3CD0034 1CD22994
	ds_write_b64 v20, v[134:135] offset:25856                  // 00000000687C: D89A6500 00008614
	v_mfma_f32_16x16x16_f16 v[52:55], a[150:151], a[22:23], v[52:55]// 000000006884: D3CD0034 1CD22D96
	v_mfma_f32_16x16x16_f16 v[52:55], a[152:153], a[24:25], v[52:55]// 00000000688C: D3CD0034 1CD23198
	ds_read_b128 v[108:111], v12 offset:13056                  // 000000006894: D9FE3300 6C00000C
	ds_write_b32 v11, v36                                      // 00000000689C: D81A0000 0000240B
	v_mfma_f32_16x16x16_f16 v[52:55], a[154:155], a[26:27], v[52:55]// 0000000068A4: D3CD0034 1CD2359A
	buffer_atomic_add_f32 v141, v8, s[32:35], 0 offen offset:256// 0000000068AC: E1341100 80088D08
	v_mfma_f32_16x16x16_f16 v[52:55], a[156:157], a[28:29], v[52:55]// 0000000068B4: D3CD0034 1CD2399C
	v_mfma_f32_16x16x16_f16 v[52:55], a[158:159], a[30:31], v[52:55]// 0000000068BC: D3CD0034 1CD23D9E
	ds_read_b128 v[112:115], v12 offset:13568                  // 0000000068C4: D9FE3500 7000000C
	ds_write_b32 v11, v37 offset:1056                          // 0000000068CC: D81A0420 0000250B
	v_mfma_f32_16x16x16_f16 v[56:59], a[144:145], a[32:33], 0  // 0000000068D4: D3CD0038 1A024190
	buffer_atomic_add_f32 v142, v7, s[32:35], 0 offen offset:384// 0000000068DC: E1341180 80088E07
	v_mfma_f32_16x16x16_f16 v[56:59], a[146:147], a[34:35], v[56:59]// 0000000068E4: D3CD0038 1CE24592
	v_mfma_f32_16x16x16_f16 v[56:59], a[148:149], a[36:37], v[56:59]// 0000000068EC: D3CD0038 1CE24994
	ds_read_b128 v[116:119], v12 offset:15232                  // 0000000068F4: D9FE3B80 7400000C
	ds_write_b32 v11, v38 offset:128                           // 0000000068FC: D81A0080 0000260B
	v_mfma_f32_16x16x16_f16 v[56:59], a[150:151], a[38:39], v[56:59]// 000000006904: D3CD0038 1CE24D96
	v_mfma_f32_16x16x16_f16 v[56:59], a[152:153], a[40:41], v[56:59]// 00000000690C: D3CD0038 1CE25198
	buffer_atomic_add_f32 v143, v8, s[32:35], 0 offen offset:384// 000000006914: E1341180 80088F08
	v_mfma_f32_16x16x16_f16 v[56:59], a[154:155], a[42:43], v[56:59]// 00000000691C: D3CD0038 1CE2559A
	ds_read_b128 v[120:123], v12 offset:15744                  // 000000006924: D9FE3D80 7800000C
	ds_write_b32 v11, v39 offset:1184                          // 00000000692C: D81A04A0 0000270B
	v_mfma_f32_16x16x16_f16 v[56:59], a[156:157], a[44:45], v[56:59]// 000000006934: D3CD0038 1CE2599C
	v_mfma_f32_16x16x16_f16 v[56:59], a[158:159], a[46:47], v[56:59]// 00000000693C: D3CD0038 1CE25D9E
	s_cmp_lt_i32 s74, 12                                       // 000000006944: BF048C4A
	s_cbranch_scc0 label_0B48                                  // 000000006948: BF840075
	s_mov_b32 s60, 0xffe0fffe                                  // 00000000694C: BEBC00FF FFE0FFFE
	s_mov_b32 s61, 0xe000fe00                                  // 000000006954: BEBD00FF E000FE00
	s_nop 0                                                    // 00000000695C: BF800000
	s_add_u32 s62, 0, s46                                      // 000000006960: 803E2E80
	s_cmp_lt_i32 s74, s62                                      // 000000006964: BF043E4A
	s_cbranch_scc1 label_0B03                                  // 000000006968: BF850028
	s_cmp_eq_i32 s74, s62                                      // 00000000696C: BF003E4A
	s_cbranch_scc1 label_0AE8                                  // 000000006970: BF85000B
	s_add_u32 s62, 4, s46                                      // 000000006974: 803E2E84
	s_cmp_lt_i32 s74, s62                                      // 000000006978: BF043E4A
	s_cbranch_scc1 label_0B23                                  // 00000000697C: BF850043
	s_cmp_eq_i32 s74, s62                                      // 000000006980: BF003E4A
	s_cbranch_scc1 label_0B08                                  // 000000006984: BF850026
	s_add_u32 s62, 8, s46                                      // 000000006988: 803E2E88
	s_cmp_lt_i32 s74, s62                                      // 00000000698C: BF043E4A
	s_cbranch_scc1 label_0B43                                  // 000000006990: BF85005E
	s_cmp_eq_i32 s74, s62                                      // 000000006994: BF003E4A
	s_cbranch_scc1 label_0B28                                  // 000000006998: BF850041
	s_branch label_0B48                                        // 00000000699C: BF820060

00000000000069a0 <label_0AE8>:
	v_cndmask_b32_e64 v48, v48, v151, s[60:61]                 // 0000000069A0: D1000030 00F32F30
	s_lshl_b32 s60, s60, 1                                     // 0000000069A8: 8E3C813C
	s_lshl_b32 s61, s61, 1                                     // 0000000069AC: 8E3D813D
	s_and_b32 s60, 0xfffeffff, s60                             // 0000000069B0: 863C3CFF FFFEFFFF
	s_and_b32 s61, 0xfffeffff, s61                             // 0000000069B8: 863D3DFF FFFEFFFF
	v_cndmask_b32_e64 v49, v49, v151, s[60:61]                 // 0000000069C0: D1000031 00F32F31
	s_lshl_b32 s60, s60, 1                                     // 0000000069C8: 8E3C813C
	s_lshl_b32 s61, s61, 1                                     // 0000000069CC: 8E3D813D
	s_and_b32 s60, 0xfffeffff, s60                             // 0000000069D0: 863C3CFF FFFEFFFF
	s_and_b32 s61, 0xfffeffff, s61                             // 0000000069D8: 863D3DFF FFFEFFFF
	v_cndmask_b32_e64 v50, v50, v151, s[60:61]                 // 0000000069E0: D1000032 00F32F32
	s_lshl_b32 s60, s60, 1                                     // 0000000069E8: 8E3C813C
	s_lshl_b32 s61, s61, 1                                     // 0000000069EC: 8E3D813D
	s_and_b32 s60, 0xfffeffff, s60                             // 0000000069F0: 863C3CFF FFFEFFFF
	s_and_b32 s61, 0xfffeffff, s61                             // 0000000069F8: 863D3DFF FFFEFFFF
	v_cndmask_b32_e64 v51, v51, v151, s[60:61]                 // 000000006A00: D1000033 00F32F33
	s_branch label_0B23                                        // 000000006A08: BF820020

0000000000006a0c <label_0B03>:
	v_mov_b32_e32 v48, v151                                    // 000000006A0C: 7E600397
	v_mov_b32_e32 v49, v151                                    // 000000006A10: 7E620397
	v_mov_b32_e32 v50, v151                                    // 000000006A14: 7E640397
	v_mov_b32_e32 v51, v151                                    // 000000006A18: 7E660397
	s_branch label_0B23                                        // 000000006A1C: BF82001B

0000000000006a20 <label_0B08>:
	v_cndmask_b32_e64 v52, v52, v151, s[60:61]                 // 000000006A20: D1000034 00F32F34
	s_lshl_b32 s60, s60, 1                                     // 000000006A28: 8E3C813C
	s_lshl_b32 s61, s61, 1                                     // 000000006A2C: 8E3D813D
	s_and_b32 s60, 0xfffeffff, s60                             // 000000006A30: 863C3CFF FFFEFFFF
	s_and_b32 s61, 0xfffeffff, s61                             // 000000006A38: 863D3DFF FFFEFFFF
	v_cndmask_b32_e64 v53, v53, v151, s[60:61]                 // 000000006A40: D1000035 00F32F35
	s_lshl_b32 s60, s60, 1                                     // 000000006A48: 8E3C813C
	s_lshl_b32 s61, s61, 1                                     // 000000006A4C: 8E3D813D
	s_and_b32 s60, 0xfffeffff, s60                             // 000000006A50: 863C3CFF FFFEFFFF
	s_and_b32 s61, 0xfffeffff, s61                             // 000000006A58: 863D3DFF FFFEFFFF
	v_cndmask_b32_e64 v54, v54, v151, s[60:61]                 // 000000006A60: D1000036 00F32F36
	s_lshl_b32 s60, s60, 1                                     // 000000006A68: 8E3C813C
	s_lshl_b32 s61, s61, 1                                     // 000000006A6C: 8E3D813D
	s_and_b32 s60, 0xfffeffff, s60                             // 000000006A70: 863C3CFF FFFEFFFF
	s_and_b32 s61, 0xfffeffff, s61                             // 000000006A78: 863D3DFF FFFEFFFF
	v_cndmask_b32_e64 v55, v55, v151, s[60:61]                 // 000000006A80: D1000037 00F32F37
	s_branch label_0B43                                        // 000000006A88: BF820020

0000000000006a8c <label_0B23>:
	v_mov_b32_e32 v52, v151                                    // 000000006A8C: 7E680397
	v_mov_b32_e32 v53, v151                                    // 000000006A90: 7E6A0397
	v_mov_b32_e32 v54, v151                                    // 000000006A94: 7E6C0397
	v_mov_b32_e32 v55, v151                                    // 000000006A98: 7E6E0397
	s_branch label_0B43                                        // 000000006A9C: BF82001B

0000000000006aa0 <label_0B28>:
	v_cndmask_b32_e64 v56, v56, v151, s[60:61]                 // 000000006AA0: D1000038 00F32F38
	s_lshl_b32 s60, s60, 1                                     // 000000006AA8: 8E3C813C
	s_lshl_b32 s61, s61, 1                                     // 000000006AAC: 8E3D813D
	s_and_b32 s60, 0xfffeffff, s60                             // 000000006AB0: 863C3CFF FFFEFFFF
	s_and_b32 s61, 0xfffeffff, s61                             // 000000006AB8: 863D3DFF FFFEFFFF
	v_cndmask_b32_e64 v57, v57, v151, s[60:61]                 // 000000006AC0: D1000039 00F32F39
	s_lshl_b32 s60, s60, 1                                     // 000000006AC8: 8E3C813C
	s_lshl_b32 s61, s61, 1                                     // 000000006ACC: 8E3D813D
	s_and_b32 s60, 0xfffeffff, s60                             // 000000006AD0: 863C3CFF FFFEFFFF
	s_and_b32 s61, 0xfffeffff, s61                             // 000000006AD8: 863D3DFF FFFEFFFF
	v_cndmask_b32_e64 v58, v58, v151, s[60:61]                 // 000000006AE0: D100003A 00F32F3A
	s_lshl_b32 s60, s60, 1                                     // 000000006AE8: 8E3C813C
	s_lshl_b32 s61, s61, 1                                     // 000000006AEC: 8E3D813D
	s_and_b32 s60, 0xfffeffff, s60                             // 000000006AF0: 863C3CFF FFFEFFFF
	s_and_b32 s61, 0xfffeffff, s61                             // 000000006AF8: 863D3DFF FFFEFFFF
	v_cndmask_b32_e64 v59, v59, v151, s[60:61]                 // 000000006B00: D100003B 00F32F3B
	s_branch label_0B48                                        // 000000006B08: BF820005

0000000000006b0c <label_0B43>:
	v_mov_b32_e32 v56, v151                                    // 000000006B0C: 7E700397
	v_mov_b32_e32 v57, v151                                    // 000000006B10: 7E720397
	v_mov_b32_e32 v58, v151                                    // 000000006B14: 7E740397
	v_mov_b32_e32 v59, v151                                    // 000000006B18: 7E760397
	s_branch label_0B48                                        // 000000006B1C: BF820000

0000000000006b20 <label_0B48>:
	s_cmp_lt_i32 s84, 0xc0                                     // 000000006B20: BF04FF54 000000C0
	s_cbranch_scc0 label_0B9D                                  // 000000006B28: BF84004D
	s_cmp_le_i32 s84, 64                                       // 000000006B2C: BF05C054
	s_cbranch_scc1 label_0B54                                  // 000000006B30: BF850007
	s_cmp_le_i32 s84, 0x80                                     // 000000006B34: BF05FF54 00000080
	s_cbranch_scc1 label_0B6C                                  // 000000006B3C: BF850017
	s_cmp_lt_i32 s84, 0xc0                                     // 000000006B40: BF04FF54 000000C0
	s_cbranch_scc1 label_0B84                                  // 000000006B48: BF85002C
	s_branch label_0B9D                                        // 000000006B4C: BF820044

0000000000006b50 <label_0B54>:
	s_mov_b32 s60, 0                                           // 000000006B50: BEBC0080
	v_and_b32_e32 v28, 15, v0                                  // 000000006B54: 2638008F
	v_add_u32_e64 v28, v28, s60                                // 000000006B58: D134001C 0000791C
	v_mul_i32_i24_e64 v29, s46, 16                             // 000000006B60: D106001D 0001202E
	v_add_u32_e32 v28, v28, v29                                // 000000006B68: 68383B1C
	v_cmp_lt_u32_e64 s[60:61], v28, s84                        // 000000006B6C: D0C9003C 0000A91C
	s_nop 1                                                    // 000000006B74: BF800001
	v_cndmask_b32_e64 v48, v151, v48, s[60:61]                 // 000000006B78: D1000030 00F26197
	v_cndmask_b32_e64 v49, v151, v49, s[60:61]                 // 000000006B80: D1000031 00F26397
	v_cndmask_b32_e64 v50, v151, v50, s[60:61]                 // 000000006B88: D1000032 00F26597
	v_cndmask_b32_e64 v51, v151, v51, s[60:61]                 // 000000006B90: D1000033 00F26797
	s_branch label_0B7F                                        // 000000006B98: BF820013

0000000000006b9c <label_0B6C>:
	s_mov_b32 s60, 64                                          // 000000006B9C: BEBC00C0
	v_and_b32_e32 v28, 15, v0                                  // 000000006BA0: 2638008F
	v_add_u32_e64 v28, v28, s60                                // 000000006BA4: D134001C 0000791C
	v_mul_i32_i24_e64 v29, s46, 16                             // 000000006BAC: D106001D 0001202E
	v_add_u32_e32 v28, v28, v29                                // 000000006BB4: 68383B1C
	v_cmp_lt_u32_e64 s[60:61], v28, s84                        // 000000006BB8: D0C9003C 0000A91C
	s_nop 1                                                    // 000000006BC0: BF800001
	v_cndmask_b32_e64 v52, v151, v52, s[60:61]                 // 000000006BC4: D1000034 00F26997
	v_cndmask_b32_e64 v53, v151, v53, s[60:61]                 // 000000006BCC: D1000035 00F26B97
	v_cndmask_b32_e64 v54, v151, v54, s[60:61]                 // 000000006BD4: D1000036 00F26D97
	v_cndmask_b32_e64 v55, v151, v55, s[60:61]                 // 000000006BDC: D1000037 00F26F97
	s_branch label_0B98                                        // 000000006BE4: BF820019

0000000000006be8 <label_0B7F>:
	v_mov_b32_e32 v52, v151                                    // 000000006BE8: 7E680397
	v_mov_b32_e32 v53, v151                                    // 000000006BEC: 7E6A0397
	v_mov_b32_e32 v54, v151                                    // 000000006BF0: 7E6C0397
	v_mov_b32_e32 v55, v151                                    // 000000006BF4: 7E6E0397
	s_branch label_0B98                                        // 000000006BF8: BF820014

0000000000006bfc <label_0B84>:
	s_mov_b32 s60, 0x80                                        // 000000006BFC: BEBC00FF 00000080
	v_and_b32_e32 v28, 15, v0                                  // 000000006C04: 2638008F
	v_add_u32_e64 v28, v28, s60                                // 000000006C08: D134001C 0000791C
	v_mul_i32_i24_e64 v29, s46, 16                             // 000000006C10: D106001D 0001202E
	v_add_u32_e32 v28, v28, v29                                // 000000006C18: 68383B1C
	v_cmp_lt_u32_e64 s[60:61], v28, s84                        // 000000006C1C: D0C9003C 0000A91C
	s_nop 1                                                    // 000000006C24: BF800001
	v_cndmask_b32_e64 v56, v151, v56, s[60:61]                 // 000000006C28: D1000038 00F27197
	v_cndmask_b32_e64 v57, v151, v57, s[60:61]                 // 000000006C30: D1000039 00F27397
	v_cndmask_b32_e64 v58, v151, v58, s[60:61]                 // 000000006C38: D100003A 00F27597
	v_cndmask_b32_e64 v59, v151, v59, s[60:61]                 // 000000006C40: D100003B 00F27797
	s_branch label_0B9D                                        // 000000006C48: BF820005

0000000000006c4c <label_0B98>:
	v_mov_b32_e32 v56, v151                                    // 000000006C4C: 7E700397
	v_mov_b32_e32 v57, v151                                    // 000000006C50: 7E720397
	v_mov_b32_e32 v58, v151                                    // 000000006C54: 7E740397
	v_mov_b32_e32 v59, v151                                    // 000000006C58: 7E760397
	s_branch label_0B9D                                        // 000000006C5C: BF820000

0000000000006c60 <label_0B9D>:
	s_addk_i32 s74, 0x1                                        // 000000006C60: B74A0001
	s_waitcnt lgkmcnt(8)                                       // 000000006C64: BF8CC87F
	s_barrier                                                  // 000000006C68: BF8A0000
	v_mfma_f32_16x16x16_f16 v[72:75], v[92:93], a[96:97], 0    // 000000006C6C: D3CD0048 1202C15C
	ds_read_b128 a[144:147], v12 offset:4352                   // 000000006C74: DBFE1100 9000000C
	ds_read_b128 a[148:151], v12 offset:4864                   // 000000006C7C: DBFE1300 9400000C
	v_mfma_f32_16x16x16_f16 v[72:75], v[94:95], a[98:99], v[72:75]// 000000006C84: D3CD0048 1522C55E
	v_fma_f32 v48, v48, s57, -v124                             // 000000006C8C: D1CB0030 85F07330
	v_fma_f32 v49, v49, s57, -v125                             // 000000006C94: D1CB0031 85F47331
	v_fma_f32 v50, v50, s57, -v126                             // 000000006C9C: D1CB0032 85F87332
	v_mfma_f32_16x16x16_f16 v[72:75], v[96:97], a[100:101], v[72:75]// 000000006CA4: D3CD0048 1522C960
	v_fma_f32 v51, v51, s57, -v127                             // 000000006CAC: D1CB0033 85FC7333
	v_fma_f32 v52, v52, s57, -v124                             // 000000006CB4: D1CB0034 85F07334
	v_fma_f32 v53, v53, s57, -v125                             // 000000006CBC: D1CB0035 85F47335
	v_mfma_f32_16x16x16_f16 v[72:75], v[98:99], a[102:103], v[72:75]// 000000006CC4: D3CD0048 1522CD62
	v_fma_f32 v54, v54, s57, -v126                             // 000000006CCC: D1CB0036 85F87336
	v_fma_f32 v55, v55, s57, -v127                             // 000000006CD4: D1CB0037 85FC7337
	v_fma_f32 v56, v56, s57, -v124                             // 000000006CDC: D1CB0038 85F07338
	v_mfma_f32_16x16x16_f16 v[72:75], v[100:101], a[104:105], v[72:75]// 000000006CE4: D3CD0048 1522D164
	ds_read_b128 a[152:155], v12 offset:6528                   // 000000006CEC: DBFE1980 9800000C
	ds_read_b128 a[156:159], v12 offset:7040                   // 000000006CF4: DBFE1B80 9C00000C
	v_mfma_f32_16x16x16_f16 v[72:75], v[102:103], a[106:107], v[72:75]// 000000006CFC: D3CD0048 1522D566
	v_fma_f32 v57, v57, s57, -v125                             // 000000006D04: D1CB0039 85F47339
	v_fma_f32 v58, v58, s57, -v126                             // 000000006D0C: D1CB003A 85F8733A
	v_fma_f32 v59, v59, s57, -v127                             // 000000006D14: D1CB003B 85FC733B
	v_mfma_f32_16x16x16_f16 v[72:75], v[104:105], a[108:109], v[72:75]// 000000006D1C: D3CD0048 1522D968
	v_exp_f32_e32 v48, v48                                     // 000000006D24: 7E604130
	v_mfma_f32_16x16x16_f16 v[72:75], v[106:107], a[110:111], v[72:75]// 000000006D28: D3CD0048 1522DD6A
	v_exp_f32_e32 v49, v49                                     // 000000006D30: 7E624131
	v_mfma_f32_16x16x16_f16 v[76:79], v[92:93], a[112:113], 0  // 000000006D34: D3CD004C 1202E15C
	ds_read_b64 v[136:137], v19 offset:24320                   // 000000006D3C: D8EC5F00 88000013
	ds_read_b64 v[138:139], v19 offset:26368                   // 000000006D44: D8EC6700 8A000013
	v_mfma_f32_16x16x16_f16 v[76:79], v[94:95], a[114:115], v[76:79]// 000000006D4C: D3CD004C 1532E55E
	v_exp_f32_e32 v50, v50                                     // 000000006D54: 7E644132
	v_mfma_f32_16x16x16_f16 v[76:79], v[96:97], a[116:117], v[76:79]// 000000006D58: D3CD004C 1532E960
	ds_read_b64 v[140:141], v19 offset:28416                   // 000000006D60: D8EC6F00 8C000013
	ds_read_b64 v[142:143], v19 offset:30464                   // 000000006D68: D8EC7700 8E000013
	v_mfma_f32_16x16x16_f16 v[76:79], v[98:99], a[118:119], v[76:79]// 000000006D70: D3CD004C 1532ED62
	v_exp_f32_e32 v51, v51                                     // 000000006D78: 7E664133
	v_mfma_f32_16x16x16_f16 v[76:79], v[100:101], a[120:121], v[76:79]// 000000006D7C: D3CD004C 1532F164
	v_exp_f32_e32 v52, v52                                     // 000000006D84: 7E684134
	v_mfma_f32_16x16x16_f16 v[76:79], v[102:103], a[122:123], v[76:79]// 000000006D88: D3CD004C 1532F566
	v_exp_f32_e32 v53, v53                                     // 000000006D90: 7E6A4135
	v_mfma_f32_16x16x16_f16 v[76:79], v[104:105], a[124:125], v[76:79]// 000000006D94: D3CD004C 1532F968
	v_exp_f32_e32 v54, v54                                     // 000000006D9C: 7E6C4136
	v_mfma_f32_16x16x16_f16 v[76:79], v[106:107], a[126:127], v[76:79]// 000000006DA0: D3CD004C 1532FD6A
	v_exp_f32_e32 v55, v55                                     // 000000006DA8: 7E6E4137
	v_mfma_f32_16x16x16_f16 v[80:83], v[92:93], a[128:129], 0  // 000000006DAC: D3CD0050 1203015C
	v_exp_f32_e32 v56, v56                                     // 000000006DB4: 7E704138
	v_mfma_f32_16x16x16_f16 v[80:83], v[94:95], a[130:131], v[80:83]// 000000006DB8: D3CD0050 1543055E
	v_exp_f32_e32 v57, v57                                     // 000000006DC0: 7E724139
	v_mfma_f32_16x16x16_f16 v[80:83], v[96:97], a[132:133], v[80:83]// 000000006DC4: D3CD0050 15430960
	v_exp_f32_e32 v58, v58                                     // 000000006DCC: 7E74413A
	v_mfma_f32_16x16x16_f16 v[80:83], v[98:99], a[134:135], v[80:83]// 000000006DD0: D3CD0050 15430D62
	v_exp_f32_e32 v59, v59                                     // 000000006DD8: 7E76413B
	v_mfma_f32_16x16x16_f16 v[80:83], v[100:101], a[136:137], v[80:83]// 000000006DDC: D3CD0050 15431164
	v_cvt_pkrtz_f16_f32 v144, v48, v49                         // 000000006DE4: D2960090 00026330
	v_cvt_pkrtz_f16_f32 v145, v50, v51                         // 000000006DEC: D2960091 00026732
	v_cvt_pkrtz_f16_f32 v146, v52, v53                         // 000000006DF4: D2960092 00026B34
	v_mfma_f32_16x16x16_f16 v[80:83], v[102:103], a[138:139], v[80:83]// 000000006DFC: D3CD0050 15431566
	v_cvt_pkrtz_f16_f32 v147, v54, v55                         // 000000006E04: D2960093 00026F36
	v_cvt_pkrtz_f16_f32 v148, v56, v57                         // 000000006E0C: D2960094 00027338
	v_cvt_pkrtz_f16_f32 v149, v58, v59                         // 000000006E14: D2960095 0002773A
	v_mfma_f32_16x16x16_f16 v[80:83], v[104:105], a[140:141], v[80:83]// 000000006E1C: D3CD0050 15431968
	v_add_u32_e32 v7, s66, v7                                  // 000000006E24: 680E0E42
	v_add_u32_e32 v8, s66, v8                                  // 000000006E28: 68101042
	v_mfma_f32_16x16x16_f16 v[80:83], v[106:107], a[142:143], v[80:83]// 000000006E2C: D3CD0050 15431D6A
	s_waitcnt lgkmcnt(0)                                       // 000000006E34: BF8CC07F
	s_barrier                                                  // 000000006E38: BF8A0000
	v_mfma_f32_16x16x16_f16 v[152:155], v[108:109], v[144:145], v[152:155]// 000000006E3C: D3CD0098 0663216C
	v_subrev_f32_dpp v72, v150, v72 quad_perm:[0,0,0,0] row_mask:0xf bank_mask:0xf// 000000006E44: 069090FA FF000096
	v_subrev_f32_dpp v73, v150, v73 quad_perm:[1,1,1,1] row_mask:0xf bank_mask:0xf// 000000006E4C: 069292FA FF005596
	v_subrev_f32_dpp v74, v150, v74 quad_perm:[2,2,2,2] row_mask:0xf bank_mask:0xf// 000000006E54: 069494FA FF00AA96
	v_mfma_f32_16x16x16_f16 v[156:159], v[110:111], v[144:145], v[156:159]// 000000006E5C: D3CD009C 0673216E
	v_subrev_f32_dpp v75, v150, v75 quad_perm:[3,3,3,3] row_mask:0xf bank_mask:0xf// 000000006E64: 069696FA FF00FF96
	v_subrev_f32_dpp v76, v150, v76 quad_perm:[0,0,0,0] row_mask:0xf bank_mask:0xf// 000000006E6C: 069898FA FF000096
	v_subrev_f32_dpp v77, v150, v77 quad_perm:[1,1,1,1] row_mask:0xf bank_mask:0xf// 000000006E74: 069A9AFA FF005596
	v_mfma_f32_16x16x16_f16 v[160:163], v[112:113], v[144:145], v[160:163]// 000000006E7C: D3CD00A0 06832170
	v_mul_f32_e32 v72, v48, v72                                // 000000006E84: 0A909130
	v_mul_f32_e32 v73, v49, v73                                // 000000006E88: 0A929331
	v_mul_f32_e32 v74, v50, v74                                // 000000006E8C: 0A949532
	v_mfma_f32_16x16x16_f16 v[164:167], v[114:115], v[144:145], v[164:167]// 000000006E90: D3CD00A4 06932172
	v_mul_f32_e32 v75, v51, v75                                // 000000006E98: 0A969733
	v_mul_f32_e32 v76, v52, v76                                // 000000006E9C: 0A989934
	v_mul_f32_e32 v77, v53, v77                                // 000000006EA0: 0A9A9B35
	v_mfma_f32_16x16x16_f16 v[168:171], v[116:117], v[144:145], v[168:171]// 000000006EA4: D3CD00A8 06A32174
	v_cvt_pkrtz_f16_f32 v72, v72, v73                          // 000000006EAC: D2960048 00029348
	v_cvt_pkrtz_f16_f32 v73, v74, v75                          // 000000006EB4: D2960049 0002974A
	v_cvt_pkrtz_f16_f32 v74, v76, v77                          // 000000006EBC: D296004A 00029B4C
	v_mfma_f32_16x16x16_f16 v[172:175], v[118:119], v[144:145], v[172:175]// 000000006EC4: D3CD00AC 06B32176
	v_mov_b32_dpp v16, v72 quad_perm:[1,0,3,2] row_mask:0xf bank_mask:0xf// 000000006ECC: 7E2002FA FF00B148
	v_perm_b32 v48, v16, v72, v15                              // 000000006ED4: D1ED0030 043E9110
	v_mov_b32_dpp v16, v73 quad_perm:[1,0,3,2] row_mask:0xf bank_mask:0xf// 000000006EDC: 7E2002FA FF00B149
	v_mfma_f32_16x16x16_f16 v[176:179], v[120:121], v[144:145], v[176:179]// 000000006EE4: D3CD00B0 06C32178
	v_perm_b32 v49, v16, v73, v15                              // 000000006EEC: D1ED0031 043E9310
	v_mov_b32_dpp v16, v74 quad_perm:[1,0,3,2] row_mask:0xf bank_mask:0xf// 000000006EF4: 7E2002FA FF00B14A
	v_perm_b32 v50, v16, v74, v15                              // 000000006EFC: D1ED0032 043E9510
	v_mfma_f32_16x16x16_f16 v[180:183], v[122:123], v[144:145], v[180:183]// 000000006F04: D3CD00B4 06D3217A
	ds_write_b32 v18, v48 offset:17408                         // 000000006F0C: D81A4400 00003012
	v_mfma_f32_16x16x16_f16 v[184:187], v[108:109], v[146:147], v[184:187]// 000000006F14: D3CD00B8 06E3256C
	v_subrev_f32_dpp v78, v150, v78 quad_perm:[2,2,2,2] row_mask:0xf bank_mask:0xf// 000000006F1C: 069C9CFA FF00AA96
	v_subrev_f32_dpp v79, v150, v79 quad_perm:[3,3,3,3] row_mask:0xf bank_mask:0xf// 000000006F24: 069E9EFA FF00FF96
	v_subrev_f32_dpp v80, v150, v80 quad_perm:[0,0,0,0] row_mask:0xf bank_mask:0xf// 000000006F2C: 06A0A0FA FF000096
	v_mfma_f32_16x16x16_f16 v[188:191], v[110:111], v[146:147], v[188:191]// 000000006F34: D3CD00BC 06F3256E
	ds_write_b32 v18, v49 offset:17952                         // 000000006F3C: D81A4620 00003112
	v_mfma_f32_16x16x16_f16 v[192:195], v[112:113], v[146:147], v[192:195]// 000000006F44: D3CD00C0 07032570
	v_subrev_f32_dpp v81, v150, v81 quad_perm:[1,1,1,1] row_mask:0xf bank_mask:0xf// 000000006F4C: 06A2A2FA FF005596
	v_subrev_f32_dpp v82, v150, v82 quad_perm:[2,2,2,2] row_mask:0xf bank_mask:0xf// 000000006F54: 06A4A4FA FF00AA96
	v_subrev_f32_dpp v83, v150, v83 quad_perm:[3,3,3,3] row_mask:0xf bank_mask:0xf// 000000006F5C: 06A6A6FA FF00FF96
	v_mfma_f32_16x16x16_f16 v[196:199], v[114:115], v[146:147], v[196:199]// 000000006F64: D3CD00C4 07132572
	ds_write_b32 v18, v50 offset:19712                         // 000000006F6C: D81A4D00 00003212
	v_mfma_f32_16x16x16_f16 v[200:203], v[116:117], v[146:147], v[200:203]// 000000006F74: D3CD00C8 07232574
	v_mul_f32_e32 v78, v54, v78                                // 000000006F7C: 0A9C9D36
	v_mul_f32_e32 v79, v55, v79                                // 000000006F80: 0A9E9F37
	v_mul_f32_e32 v80, v56, v80                                // 000000006F84: 0AA0A138
	v_mfma_f32_16x16x16_f16 v[204:207], v[118:119], v[146:147], v[204:207]// 000000006F88: D3CD00CC 07332576
	v_mul_f32_e32 v81, v57, v81                                // 000000006F90: 0AA2A339
	v_mul_f32_e32 v82, v58, v82                                // 000000006F94: 0AA4A53A
	v_mul_f32_e32 v83, v59, v83                                // 000000006F98: 0AA6A73B
	v_mfma_f32_16x16x16_f16 v[208:211], v[120:121], v[146:147], v[208:211]// 000000006F9C: D3CD00D0 07432578
	v_cvt_pkrtz_f16_f32 v75, v78, v79                          // 000000006FA4: D296004B 00029F4E
	v_cvt_pkrtz_f16_f32 v76, v80, v81                          // 000000006FAC: D296004C 0002A350
	v_cvt_pkrtz_f16_f32 v77, v82, v83                          // 000000006FB4: D296004D 0002A752
	v_mfma_f32_16x16x16_f16 v[212:215], v[122:123], v[146:147], v[212:215]// 000000006FBC: D3CD00D4 0753257A
	v_mov_b32_dpp v16, v75 quad_perm:[1,0,3,2] row_mask:0xf bank_mask:0xf// 000000006FC4: 7E2002FA FF00B14B
	v_perm_b32 v51, v16, v75, v15                              // 000000006FCC: D1ED0033 043E9710
	v_mov_b32_dpp v16, v76 quad_perm:[1,0,3,2] row_mask:0xf bank_mask:0xf// 000000006FD4: 7E2002FA FF00B14C
	v_mfma_f32_16x16x16_f16 v[216:219], v[108:109], v[148:149], v[216:219]// 000000006FDC: D3CD00D8 0763296C
	v_perm_b32 v52, v16, v76, v15                              // 000000006FE4: D1ED0034 043E9910
	v_mov_b32_dpp v16, v77 quad_perm:[1,0,3,2] row_mask:0xf bank_mask:0xf// 000000006FEC: 7E2002FA FF00B14D
	v_perm_b32 v53, v16, v77, v15                              // 000000006FF4: D1ED0035 043E9B10
	v_mfma_f32_16x16x16_f16 v[220:223], v[110:111], v[148:149], v[220:223]// 000000006FFC: D3CD00DC 0773296E
	ds_write_b32 v18, v51 offset:20256                         // 000000007004: D81A4F20 00003312
	v_mfma_f32_16x16x16_f16 v[224:227], v[112:113], v[148:149], v[224:227]// 00000000700C: D3CD00E0 07832970
	v_mfma_f32_16x16x16_f16 v[228:231], v[114:115], v[148:149], v[228:231]// 000000007014: D3CD00E4 07932972
	ds_write_b32 v18, v52 offset:22016                         // 00000000701C: D81A5600 00003412
	ds_write_b32 v18, v53 offset:22560                         // 000000007024: D81A5820 00003512
	v_mfma_f32_16x16x16_f16 v[232:235], v[116:117], v[148:149], v[232:235]// 00000000702C: D3CD00E8 07A32974
	v_mfma_f32_16x16x16_f16 v[236:239], v[118:119], v[148:149], v[236:239]// 000000007034: D3CD00EC 07B32976
	ds_write_b32 v13, v84 offset:4352                          // 00000000703C: D81A1100 0000540D
	ds_write_b32 v13, v85 offset:5408                          // 000000007044: D81A1520 0000550D
	v_mfma_f32_16x16x16_f16 v[240:243], v[120:121], v[148:149], v[240:243]// 00000000704C: D3CD00F0 07C32978
	s_nop 0                                                    // 000000007054: BF800000
	s_nop 0                                                    // 000000007058: BF800000
	s_nop 0                                                    // 00000000705C: BF800000
	v_mfma_f32_16x16x16_f16 v[244:247], v[122:123], v[148:149], v[244:247]// 000000007060: D3CD00F4 07D3297A
	ds_write_b32 v13, v86 offset:4480                          // 000000007068: D81A1180 0000560D
	ds_write_b32 v13, v87 offset:5536                          // 000000007070: D81A15A0 0000570D
	s_barrier                                                  // 000000007078: BF8A0000
	v_mfma_f32_16x16x16_f16 a[160:163], a[144:145], v[72:73], a[160:163]// 00000000707C: D3CD80A0 0E829190
	buffer_atomic_add_f32 v136, v7, s[32:35], 0 offen          // 000000007084: E1341000 80088807
	v_mfma_f32_16x16x16_f16 a[164:167], a[146:147], v[72:73], a[164:167]// 00000000708C: D3CD80A4 0E929192
	ds_read_b32 v124, v21 offset:51200                         // 000000007094: D86CC800 7C000015
	ds_read_b32 v150, v21 offset:51456                         // 00000000709C: D86CC900 96000015
	v_mfma_f32_16x16x16_f16 a[168:171], a[148:149], v[72:73], a[168:171]// 0000000070A4: D3CD80A8 0EA29194
	s_waitcnt lgkmcnt(6)                                       // 0000000070AC: BF8CC67F
	s_barrier                                                  // 0000000070B0: BF8A0000
	v_mfma_f32_16x16x16_f16 a[172:175], a[150:151], v[72:73], a[172:175]// 0000000070B4: D3CD80AC 0EB29196
	ds_read_b128 v[48:51], v17 offset:17408                    // 0000000070BC: D9FE4400 30000011
	v_mfma_f32_16x16x16_f16 a[176:179], a[152:153], v[72:73], a[176:179]// 0000000070C4: D3CD80B0 0EC29198
	v_mfma_f32_16x16x16_f16 a[180:183], a[154:155], v[72:73], a[180:183]// 0000000070CC: D3CD80B4 0ED2919A
	ds_read_b128 v[52:55], v17 offset:18560                    // 0000000070D4: D9FE4880 34000011
	v_mfma_f32_16x16x16_f16 a[184:187], a[156:157], v[72:73], a[184:187]// 0000000070DC: D3CD80B8 0EE2919C
	buffer_atomic_add_f32 v137, v8, s[32:35], 0 offen          // 0000000070E4: E1341000 80088908
	v_mfma_f32_16x16x16_f16 a[188:191], a[158:159], v[72:73], a[188:191]// 0000000070EC: D3CD80BC 0EF2919E
	ds_read_b128 v[56:59], v17 offset:19712                    // 0000000070F4: D9FE4D00 38000011
	v_mfma_f32_16x16x16_f16 a[192:195], a[144:145], v[74:75], a[192:195]// 0000000070FC: D3CD80C0 0F029590
	v_mfma_f32_16x16x16_f16 a[196:199], a[146:147], v[74:75], a[196:199]// 000000007104: D3CD80C4 0F129592
	ds_read_b128 v[60:63], v17 offset:20864                    // 00000000710C: D9FE5180 3C000011
	v_mfma_f32_16x16x16_f16 a[200:203], a[148:149], v[74:75], a[200:203]// 000000007114: D3CD80C8 0F229594
	v_mfma_f32_16x16x16_f16 a[204:207], a[150:151], v[74:75], a[204:207]// 00000000711C: D3CD80CC 0F329596
	ds_read_b128 v[64:67], v17 offset:22016                    // 000000007124: D9FE5600 40000011
	v_mfma_f32_16x16x16_f16 a[208:211], a[152:153], v[74:75], a[208:211]// 00000000712C: D3CD80D0 0F429598
	buffer_atomic_add_f32 v138, v7, s[32:35], 0 offen offset:128// 000000007134: E1341080 80088A07
	v_mfma_f32_16x16x16_f16 a[212:215], a[154:155], v[74:75], a[212:215]// 00000000713C: D3CD80D4 0F52959A
	ds_read_b128 v[68:71], v17 offset:23168                    // 000000007144: D9FE5A80 44000011
	v_mfma_f32_16x16x16_f16 a[216:219], a[156:157], v[74:75], a[216:219]// 00000000714C: D3CD80D8 0F62959C
	v_mfma_f32_16x16x16_f16 a[220:223], a[158:159], v[74:75], a[220:223]// 000000007154: D3CD80DC 0F72959E
	ds_write_b32 v13, v88 offset:13056                         // 00000000715C: D81A3300 0000580D
	v_mfma_f32_16x16x16_f16 a[224:227], a[144:145], v[76:77], a[224:227]// 000000007164: D3CD80E0 0F829990
	v_mfma_f32_16x16x16_f16 a[228:231], a[146:147], v[76:77], a[228:231]// 00000000716C: D3CD80E4 0F929992
	ds_write_b32 v13, v89 offset:14112                         // 000000007174: D81A3720 0000590D
	v_mfma_f32_16x16x16_f16 a[232:235], a[148:149], v[76:77], a[232:235]// 00000000717C: D3CD80E8 0FA29994
	buffer_atomic_add_f32 v139, v8, s[32:35], 0 offen offset:128// 000000007184: E1341080 80088B08
	v_mfma_f32_16x16x16_f16 a[236:239], a[150:151], v[76:77], a[236:239]// 00000000718C: D3CD80EC 0FB29996
	ds_write_b32 v13, v90 offset:13184                         // 000000007194: D81A3380 00005A0D
	v_mfma_f32_16x16x16_f16 a[240:243], a[152:153], v[76:77], a[240:243]// 00000000719C: D3CD80F0 0FC29998
	v_mfma_f32_16x16x16_f16 a[244:247], a[154:155], v[76:77], a[244:247]// 0000000071A4: D3CD80F4 0FD2999A
	ds_write_b32 v13, v91 offset:14240                         // 0000000071AC: D81A37A0 00005B0D
	v_mfma_f32_16x16x16_f16 a[248:251], a[156:157], v[76:77], a[248:251]// 0000000071B4: D3CD80F8 0FE2999C
	v_mfma_f32_16x16x16_f16 a[252:255], a[158:159], v[76:77], a[252:255]// 0000000071BC: D3CD80FC 0FF2999E
	s_waitcnt vmcnt(8) lgkmcnt(4)                              // 0000000071C4: BF8C0478
	s_barrier                                                  // 0000000071C8: BF8A0000
	v_mfma_f32_16x16x16_f16 v[128:131], v[48:49], a[48:49], 0  // 0000000071CC: D3CD0080 12026130
	v_mul_f32_e32 v124, s48, v124                              // 0000000071D4: 0AF8F830
	s_nop 0                                                    // 0000000071D8: BF800000
	v_mfma_f32_16x16x16_f16 v[128:131], v[50:51], a[52:53], v[128:131]// 0000000071DC: D3CD0080 16026932
	ds_read_b128 a[144:147], v10                               // 0000000071E4: DBFE0000 9000000A
	v_mov_b32_e32 v36, 0                                       // 0000000071EC: 7E480280
	s_mov_b64 exec, s[80:81]                                   // 0000000071F0: BEFE0150
	buffer_load_dword v36, v1, s[8:11], 0 idxen                // 0000000071F4: E0502000 80022401
	s_mov_b32 exec_lo, -1                                      // 0000000071FC: BEFE00C1
	s_mov_b32 exec_hi, -1                                      // 000000007200: BEFF00C1
	v_mfma_f32_16x16x16_f16 v[128:131], v[52:53], a[56:57], v[128:131]// 000000007204: D3CD0080 16027134
	v_mfma_f32_16x16x16_f16 v[128:131], v[54:55], a[60:61], v[128:131]// 00000000720C: D3CD0080 16027936
	ds_read_b128 a[148:151], v10 offset:512                    // 000000007214: DBFE0200 9400000A
	v_mov_b32_e32 v37, 0                                       // 00000000721C: 7E4A0280
	s_mov_b64 exec, s[80:81]                                   // 000000007220: BEFE0150
	buffer_load_dword v37, v2, s[8:11], 0 idxen                // 000000007224: E0502000 80022502
	s_mov_b32 exec_lo, -1                                      // 00000000722C: BEFE00C1
	s_mov_b32 exec_hi, -1                                      // 000000007230: BEFF00C1
	v_mfma_f32_16x16x16_f16 v[128:131], v[56:57], a[64:65], v[128:131]// 000000007234: D3CD0080 16028138
	v_perm_b32 v84, v33, v32, s63                              // 00000000723C: D1ED0054 00FE4121
	v_perm_b32 v85, v33, v32, s64                              // 000000007244: D1ED0055 01024121
	v_mfma_f32_16x16x16_f16 v[128:131], v[58:59], a[68:69], v[128:131]// 00000000724C: D3CD0080 1602893A
	ds_read_b128 a[152:155], v10 offset:2176                   // 000000007254: DBFE0880 9800000A
	v_mov_b32_e32 v38, 0                                       // 00000000725C: 7E4C0280
	s_mov_b64 exec, s[80:81]                                   // 000000007260: BEFE0150
	buffer_load_dword v38, v3, s[8:11], 0 idxen                // 000000007264: E0502000 80022603
	s_mov_b32 exec_lo, -1                                      // 00000000726C: BEFE00C1
	s_mov_b32 exec_hi, -1                                      // 000000007270: BEFF00C1
	v_mfma_f32_16x16x16_f16 v[128:131], v[60:61], a[72:73], v[128:131]// 000000007274: D3CD0080 1602913C
	v_perm_b32 v86, v35, v34, s63                              // 00000000727C: D1ED0056 00FE4523
	v_perm_b32 v87, v35, v34, s64                              // 000000007284: D1ED0057 01024523
	v_mfma_f32_16x16x16_f16 v[128:131], v[62:63], a[76:77], v[128:131]// 00000000728C: D3CD0080 1602993E
	ds_read_b128 a[156:159], v10 offset:2688                   // 000000007294: DBFE0A80 9C00000A
	v_mov_b32_e32 v39, 0                                       // 00000000729C: 7E4E0280
	s_mov_b64 exec, s[80:81]                                   // 0000000072A0: BEFE0150
	buffer_load_dword v39, v4, s[8:11], 0 idxen                // 0000000072A4: E0502000 80022704
	s_mov_b32 exec_lo, -1                                      // 0000000072AC: BEFE00C1
	s_mov_b32 exec_hi, -1                                      // 0000000072B0: BEFF00C1
	v_mfma_f32_16x16x16_f16 v[128:131], v[64:65], a[80:81], v[128:131]// 0000000072B4: D3CD0080 1602A140
	v_perm_b32 v88, v41, v40, s63                              // 0000000072BC: D1ED0058 00FE5129
	v_perm_b32 v89, v41, v40, s64                              // 0000000072C4: D1ED0059 01025129
	v_mfma_f32_16x16x16_f16 v[128:131], v[66:67], a[84:85], v[128:131]// 0000000072CC: D3CD0080 1602A942
	ds_read_b128 v[92:95], v10 offset:8704                     // 0000000072D4: D9FE2200 5C00000A
	v_mov_b32_e32 v44, 0                                       // 0000000072DC: 7E580280
	s_mov_b64 exec, s[80:81]                                   // 0000000072E0: BEFE0150
	buffer_load_dword v44, v248, s[20:23], 0 idxen             // 0000000072E4: E0502000 80052CF8
	s_mov_b32 exec_lo, -1                                      // 0000000072EC: BEFE00C1
	s_mov_b32 exec_hi, -1                                      // 0000000072F0: BEFF00C1
	v_mfma_f32_16x16x16_f16 v[128:131], v[68:69], a[88:89], v[128:131]// 0000000072F4: D3CD0080 1602B144
	v_perm_b32 v90, v43, v42, s63                              // 0000000072FC: D1ED005A 00FE552B
	v_perm_b32 v91, v43, v42, s64                              // 000000007304: D1ED005B 0102552B
	v_mfma_f32_16x16x16_f16 v[128:131], v[70:71], a[92:93], v[128:131]// 00000000730C: D3CD0080 1602B946
	ds_read_b128 v[96:99], v10 offset:9216                     // 000000007314: D9FE2400 6000000A
	v_mov_b32_e32 v45, 0                                       // 00000000731C: 7E5A0280
	s_mov_b64 exec, s[80:81]                                   // 000000007320: BEFE0150
	buffer_load_dword v45, v249, s[20:23], 0 idxen             // 000000007324: E0502000 80052DF9
	s_mov_b32 exec_lo, -1                                      // 00000000732C: BEFE00C1
	s_mov_b32 exec_hi, -1                                      // 000000007330: BEFF00C1
	v_mfma_f32_16x16x16_f16 v[132:135], v[48:49], a[50:51], 0  // 000000007334: D3CD0084 12026530
	v_mov_b32_dpp v127, v124 quad_perm:[3,3,3,3] row_mask:0xf bank_mask:0xf// 00000000733C: 7EFE02FA FF00FF7C
	v_mov_b32_dpp v126, v124 quad_perm:[2,2,2,2] row_mask:0xf bank_mask:0xf// 000000007344: 7EFC02FA FF00AA7C
	v_mfma_f32_16x16x16_f16 v[132:135], v[50:51], a[54:55], v[132:135]// 00000000734C: D3CD0084 16126D32
	ds_read_b128 v[100:103], v10 offset:10880                  // 000000007354: D9FE2A80 6400000A
	v_mov_b32_e32 v46, 0                                       // 00000000735C: 7E5C0280
	s_mov_b64 exec, s[80:81]                                   // 000000007360: BEFE0150
	buffer_load_dword v46, v250, s[20:23], 0 idxen             // 000000007364: E0502000 80052EFA
	s_mov_b32 exec_lo, -1                                      // 00000000736C: BEFE00C1
	s_mov_b32 exec_hi, -1                                      // 000000007370: BEFF00C1
	v_mfma_f32_16x16x16_f16 v[132:135], v[52:53], a[58:59], v[132:135]// 000000007374: D3CD0084 16127534
	v_mov_b32_dpp v125, v124 quad_perm:[1,1,1,1] row_mask:0xf bank_mask:0xf// 00000000737C: 7EFA02FA FF00557C
	v_mov_b32_dpp v124, v124 quad_perm:[0,0,0,0] row_mask:0xf bank_mask:0xf// 000000007384: 7EF802FA FF00007C
	s_add_u32 s60, 64, s59                                     // 00000000738C: 803C3BC0
	v_mfma_f32_16x16x16_f16 v[132:135], v[54:55], a[62:63], v[132:135]// 000000007390: D3CD0084 16127D36
	ds_read_b128 v[104:107], v10 offset:11392                  // 000000007398: D9FE2C80 6800000A
	v_mov_b32_e32 v47, 0                                       // 0000000073A0: 7E5E0280
	s_mov_b64 exec, s[80:81]                                   // 0000000073A4: BEFE0150
	buffer_load_dword v47, v251, s[20:23], 0 idxen             // 0000000073A8: E0502000 80052FFB
	s_mov_b32 exec_lo, -1                                      // 0000000073B0: BEFE00C1
	s_mov_b32 exec_hi, -1                                      // 0000000073B4: BEFF00C1
	v_mfma_f32_16x16x16_f16 v[132:135], v[56:57], a[66:67], v[132:135]// 0000000073B8: D3CD0084 16128538
	s_cmp_lt_u32 s60, s58                                      // 0000000073C0: BF0A3A3C
	s_cselect_b32 s68, s68, 0                                  // 0000000073C4: 85448044
	s_cselect_b32 s100, s100, 0                                // 0000000073C8: 85648064
	s_cselect_b32 s69, s69, 0                                  // 0000000073CC: 85458045
	v_mfma_f32_16x16x16_f16 v[132:135], v[58:59], a[70:71], v[132:135]// 0000000073D0: D3CD0084 16128D3A
	buffer_load_dword v9, s[24:27], 0 idxen lds                // 0000000073D8: E0512000 80060009
	v_mfma_f32_16x16x16_f16 v[132:135], v[60:61], a[74:75], v[132:135]// 0000000073E0: D3CD0084 1612953C
	v_add_u32_e32 v1, s68, v1                                  // 0000000073E8: 68020244
	v_add_u32_e32 v2, s68, v2                                  // 0000000073EC: 68040444
	v_add_u32_e32 v3, s68, v3                                  // 0000000073F0: 68060644
	v_add_u32_e32 v4, s68, v4                                  // 0000000073F4: 68080844
	v_mfma_f32_16x16x16_f16 v[132:135], v[62:63], a[78:79], v[132:135]// 0000000073F8: D3CD0084 16129D3E
	v_add_u32_e32 v248, s100, v248                             // 000000007400: 69F1F064
	v_add_u32_e32 v249, s100, v249                             // 000000007404: 69F3F264
	v_add_u32_e32 v250, s100, v250                             // 000000007408: 69F5F464
	v_add_u32_e32 v251, s100, v251                             // 00000000740C: 69F7F664
	v_mfma_f32_16x16x16_f16 v[132:135], v[64:65], a[82:83], v[132:135]// 000000007410: D3CD0084 1612A540
	s_mov_b32 m0, s78                                          // 000000007418: BEFC004E
	v_add_u32_e32 v9, s69, v9                                  // 00000000741C: 68121245
	v_mfma_f32_16x16x16_f16 v[132:135], v[66:67], a[86:87], v[132:135]// 000000007420: D3CD0084 1612AD42
	s_cmp_ge_u32 s59, s73                                      // 000000007428: BF09493B
	s_cselect_b32 s66, s67, s66                                // 00000000742C: 85424243
	v_mfma_f32_16x16x16_f16 v[132:135], v[68:69], a[90:91], v[132:135]// 000000007430: D3CD0084 1612B544
	s_addk_i32 s59, 0x10                                       // 000000007438: B73B0010
	s_nop 0                                                    // 00000000743C: BF800000
	s_cmp_lt_i32 s59, s58                                      // 000000007440: BF043A3B
	v_mfma_f32_16x16x16_f16 v[132:135], v[70:71], a[94:95], v[132:135]// 000000007444: D3CD0084 1612BD46
	s_cbranch_scc0 label_10C4                                  // 00000000744C: BF840326
	s_waitcnt lgkmcnt(0)                                       // 000000007450: BF8CC07F
	s_barrier                                                  // 000000007454: BF8A0000
	v_mfma_f32_16x16x16_f16 v[48:51], a[144:145], a[0:1], 0    // 000000007458: D3CD0030 1A020190
	ds_write_b32 v11, v40 offset:8704                          // 000000007460: D81A2200 0000280B
	ds_write_b32 v11, v41 offset:9760                          // 000000007468: D81A2620 0000290B
	v_mfma_f32_16x16x16_f16 v[48:51], a[146:147], a[2:3], v[48:51]// 000000007470: D3CD0030 1CC20592
	v_mul_f32_e32 v128, s47, v128                              // 000000007478: 0B01002F
	v_mul_f32_e32 v129, s47, v129                              // 00000000747C: 0B03022F
	v_mfma_f32_16x16x16_f16 v[48:51], a[148:149], a[4:5], v[48:51]// 000000007480: D3CD0030 1CC20994
	ds_write_b32 v11, v42 offset:8832                          // 000000007488: D81A2280 00002A0B
	ds_write_b32 v11, v43 offset:9888                          // 000000007490: D81A26A0 00002B0B
	v_mfma_f32_16x16x16_f16 v[48:51], a[150:151], a[6:7], v[48:51]// 000000007498: D3CD0030 1CC20D96
	v_mul_f32_e32 v130, s47, v130                              // 0000000074A0: 0B05042F
	v_mul_f32_e32 v131, s47, v131                              // 0000000074A4: 0B07062F
	v_mfma_f32_16x16x16_f16 v[48:51], a[152:153], a[8:9], v[48:51]// 0000000074A8: D3CD0030 1CC21198
	ds_write_b64 v20, v[128:129] offset:24320                  // 0000000074B0: D89A5F00 00008014
	v_mfma_f32_16x16x16_f16 v[48:51], a[154:155], a[10:11], v[48:51]// 0000000074B8: D3CD0030 1CC2159A
	v_mul_f32_e32 v132, s47, v132                              // 0000000074C0: 0B09082F
	v_mul_f32_e32 v133, s47, v133                              // 0000000074C4: 0B0B0A2F
	v_mfma_f32_16x16x16_f16 v[48:51], a[156:157], a[12:13], v[48:51]// 0000000074C8: D3CD0030 1CC2199C
	ds_write_b64 v20, v[130:131] offset:24832                  // 0000000074D0: D89A6100 00008214
	v_mfma_f32_16x16x16_f16 v[48:51], a[158:159], a[14:15], v[48:51]// 0000000074D8: D3CD0030 1CC21D9E
	v_mul_f32_e32 v134, s47, v134                              // 0000000074E0: 0B0D0C2F
	v_mul_f32_e32 v135, s47, v135                              // 0000000074E4: 0B0F0E2F
	v_mfma_f32_16x16x16_f16 v[52:55], a[144:145], a[16:17], 0  // 0000000074E8: D3CD0034 1A022190
	ds_write_b64 v20, v[132:133] offset:25344                  // 0000000074F0: D89A6300 00008414
	v_mfma_f32_16x16x16_f16 v[52:55], a[146:147], a[18:19], v[52:55]// 0000000074F8: D3CD0034 1CD22592
	buffer_atomic_add_f32 v140, v7, s[32:35], 0 offen offset:256// 000000007500: E1341100 80088C07
	v_mfma_f32_16x16x16_f16 v[52:55], a[148:149], a[20:21], v[52:55]// 000000007508: D3CD0034 1CD22994
	ds_write_b64 v20, v[134:135] offset:25856                  // 000000007510: D89A6500 00008614
	v_mfma_f32_16x16x16_f16 v[52:55], a[150:151], a[22:23], v[52:55]// 000000007518: D3CD0034 1CD22D96
	v_mfma_f32_16x16x16_f16 v[52:55], a[152:153], a[24:25], v[52:55]// 000000007520: D3CD0034 1CD23198
	ds_read_b128 v[108:111], v12 offset:13056                  // 000000007528: D9FE3300 6C00000C
	ds_write_b32 v11, v32                                      // 000000007530: D81A0000 0000200B
	v_mfma_f32_16x16x16_f16 v[52:55], a[154:155], a[26:27], v[52:55]// 000000007538: D3CD0034 1CD2359A
	buffer_atomic_add_f32 v141, v8, s[32:35], 0 offen offset:256// 000000007540: E1341100 80088D08
	v_mfma_f32_16x16x16_f16 v[52:55], a[156:157], a[28:29], v[52:55]// 000000007548: D3CD0034 1CD2399C
	v_mfma_f32_16x16x16_f16 v[52:55], a[158:159], a[30:31], v[52:55]// 000000007550: D3CD0034 1CD23D9E
	ds_read_b128 v[112:115], v12 offset:13568                  // 000000007558: D9FE3500 7000000C
	ds_write_b32 v11, v33 offset:1056                          // 000000007560: D81A0420 0000210B
	v_mfma_f32_16x16x16_f16 v[56:59], a[144:145], a[32:33], 0  // 000000007568: D3CD0038 1A024190
	buffer_atomic_add_f32 v142, v7, s[32:35], 0 offen offset:384// 000000007570: E1341180 80088E07
	v_mfma_f32_16x16x16_f16 v[56:59], a[146:147], a[34:35], v[56:59]// 000000007578: D3CD0038 1CE24592
	v_mfma_f32_16x16x16_f16 v[56:59], a[148:149], a[36:37], v[56:59]// 000000007580: D3CD0038 1CE24994
	ds_read_b128 v[116:119], v12 offset:15232                  // 000000007588: D9FE3B80 7400000C
	ds_write_b32 v11, v34 offset:128                           // 000000007590: D81A0080 0000220B
	v_mfma_f32_16x16x16_f16 v[56:59], a[150:151], a[38:39], v[56:59]// 000000007598: D3CD0038 1CE24D96
	v_mfma_f32_16x16x16_f16 v[56:59], a[152:153], a[40:41], v[56:59]// 0000000075A0: D3CD0038 1CE25198
	buffer_atomic_add_f32 v143, v8, s[32:35], 0 offen offset:384// 0000000075A8: E1341180 80088F08
	v_mfma_f32_16x16x16_f16 v[56:59], a[154:155], a[42:43], v[56:59]// 0000000075B0: D3CD0038 1CE2559A
	ds_read_b128 v[120:123], v12 offset:15744                  // 0000000075B8: D9FE3D80 7800000C
	ds_write_b32 v11, v35 offset:1184                          // 0000000075C0: D81A04A0 0000230B
	v_mfma_f32_16x16x16_f16 v[56:59], a[156:157], a[44:45], v[56:59]// 0000000075C8: D3CD0038 1CE2599C
	v_mfma_f32_16x16x16_f16 v[56:59], a[158:159], a[46:47], v[56:59]// 0000000075D0: D3CD0038 1CE25D9E
	s_cmp_lt_i32 s74, 12                                       // 0000000075D8: BF048C4A
	s_cbranch_scc0 label_0E72                                  // 0000000075DC: BF840075
	s_mov_b32 s60, 0xffe0fffe                                  // 0000000075E0: BEBC00FF FFE0FFFE
	s_mov_b32 s61, 0xe000fe00                                  // 0000000075E8: BEBD00FF E000FE00
	s_nop 0                                                    // 0000000075F0: BF800000
	s_add_u32 s62, 0, s46                                      // 0000000075F4: 803E2E80
	s_cmp_lt_i32 s74, s62                                      // 0000000075F8: BF043E4A
	s_cbranch_scc1 label_0E2D                                  // 0000000075FC: BF850028
	s_cmp_eq_i32 s74, s62                                      // 000000007600: BF003E4A
	s_cbranch_scc1 label_0E12                                  // 000000007604: BF85000B
	s_add_u32 s62, 4, s46                                      // 000000007608: 803E2E84
	s_cmp_lt_i32 s74, s62                                      // 00000000760C: BF043E4A
	s_cbranch_scc1 label_0E4D                                  // 000000007610: BF850043
	s_cmp_eq_i32 s74, s62                                      // 000000007614: BF003E4A
	s_cbranch_scc1 label_0E32                                  // 000000007618: BF850026
	s_add_u32 s62, 8, s46                                      // 00000000761C: 803E2E88
	s_cmp_lt_i32 s74, s62                                      // 000000007620: BF043E4A
	s_cbranch_scc1 label_0E6D                                  // 000000007624: BF85005E
	s_cmp_eq_i32 s74, s62                                      // 000000007628: BF003E4A
	s_cbranch_scc1 label_0E52                                  // 00000000762C: BF850041
	s_branch label_0E72                                        // 000000007630: BF820060

0000000000007634 <label_0E12>:
	v_cndmask_b32_e64 v48, v48, v151, s[60:61]                 // 000000007634: D1000030 00F32F30
	s_lshl_b32 s60, s60, 1                                     // 00000000763C: 8E3C813C
	s_lshl_b32 s61, s61, 1                                     // 000000007640: 8E3D813D
	s_and_b32 s60, 0xfffeffff, s60                             // 000000007644: 863C3CFF FFFEFFFF
	s_and_b32 s61, 0xfffeffff, s61                             // 00000000764C: 863D3DFF FFFEFFFF
	v_cndmask_b32_e64 v49, v49, v151, s[60:61]                 // 000000007654: D1000031 00F32F31
	s_lshl_b32 s60, s60, 1                                     // 00000000765C: 8E3C813C
	s_lshl_b32 s61, s61, 1                                     // 000000007660: 8E3D813D
	s_and_b32 s60, 0xfffeffff, s60                             // 000000007664: 863C3CFF FFFEFFFF
	s_and_b32 s61, 0xfffeffff, s61                             // 00000000766C: 863D3DFF FFFEFFFF
	v_cndmask_b32_e64 v50, v50, v151, s[60:61]                 // 000000007674: D1000032 00F32F32
	s_lshl_b32 s60, s60, 1                                     // 00000000767C: 8E3C813C
	s_lshl_b32 s61, s61, 1                                     // 000000007680: 8E3D813D
	s_and_b32 s60, 0xfffeffff, s60                             // 000000007684: 863C3CFF FFFEFFFF
	s_and_b32 s61, 0xfffeffff, s61                             // 00000000768C: 863D3DFF FFFEFFFF
	v_cndmask_b32_e64 v51, v51, v151, s[60:61]                 // 000000007694: D1000033 00F32F33
	s_branch label_0E4D                                        // 00000000769C: BF820020

00000000000076a0 <label_0E2D>:
	v_mov_b32_e32 v48, v151                                    // 0000000076A0: 7E600397
	v_mov_b32_e32 v49, v151                                    // 0000000076A4: 7E620397
	v_mov_b32_e32 v50, v151                                    // 0000000076A8: 7E640397
	v_mov_b32_e32 v51, v151                                    // 0000000076AC: 7E660397
	s_branch label_0E4D                                        // 0000000076B0: BF82001B

00000000000076b4 <label_0E32>:
	v_cndmask_b32_e64 v52, v52, v151, s[60:61]                 // 0000000076B4: D1000034 00F32F34
	s_lshl_b32 s60, s60, 1                                     // 0000000076BC: 8E3C813C
	s_lshl_b32 s61, s61, 1                                     // 0000000076C0: 8E3D813D
	s_and_b32 s60, 0xfffeffff, s60                             // 0000000076C4: 863C3CFF FFFEFFFF
	s_and_b32 s61, 0xfffeffff, s61                             // 0000000076CC: 863D3DFF FFFEFFFF
	v_cndmask_b32_e64 v53, v53, v151, s[60:61]                 // 0000000076D4: D1000035 00F32F35
	s_lshl_b32 s60, s60, 1                                     // 0000000076DC: 8E3C813C
	s_lshl_b32 s61, s61, 1                                     // 0000000076E0: 8E3D813D
	s_and_b32 s60, 0xfffeffff, s60                             // 0000000076E4: 863C3CFF FFFEFFFF
	s_and_b32 s61, 0xfffeffff, s61                             // 0000000076EC: 863D3DFF FFFEFFFF
	v_cndmask_b32_e64 v54, v54, v151, s[60:61]                 // 0000000076F4: D1000036 00F32F36
	s_lshl_b32 s60, s60, 1                                     // 0000000076FC: 8E3C813C
	s_lshl_b32 s61, s61, 1                                     // 000000007700: 8E3D813D
	s_and_b32 s60, 0xfffeffff, s60                             // 000000007704: 863C3CFF FFFEFFFF
	s_and_b32 s61, 0xfffeffff, s61                             // 00000000770C: 863D3DFF FFFEFFFF
	v_cndmask_b32_e64 v55, v55, v151, s[60:61]                 // 000000007714: D1000037 00F32F37
	s_branch label_0E6D                                        // 00000000771C: BF820020

0000000000007720 <label_0E4D>:
	v_mov_b32_e32 v52, v151                                    // 000000007720: 7E680397
	v_mov_b32_e32 v53, v151                                    // 000000007724: 7E6A0397
	v_mov_b32_e32 v54, v151                                    // 000000007728: 7E6C0397
	v_mov_b32_e32 v55, v151                                    // 00000000772C: 7E6E0397
	s_branch label_0E6D                                        // 000000007730: BF82001B

0000000000007734 <label_0E52>:
	v_cndmask_b32_e64 v56, v56, v151, s[60:61]                 // 000000007734: D1000038 00F32F38
	s_lshl_b32 s60, s60, 1                                     // 00000000773C: 8E3C813C
	s_lshl_b32 s61, s61, 1                                     // 000000007740: 8E3D813D
	s_and_b32 s60, 0xfffeffff, s60                             // 000000007744: 863C3CFF FFFEFFFF
	s_and_b32 s61, 0xfffeffff, s61                             // 00000000774C: 863D3DFF FFFEFFFF
	v_cndmask_b32_e64 v57, v57, v151, s[60:61]                 // 000000007754: D1000039 00F32F39
	s_lshl_b32 s60, s60, 1                                     // 00000000775C: 8E3C813C
	s_lshl_b32 s61, s61, 1                                     // 000000007760: 8E3D813D
	s_and_b32 s60, 0xfffeffff, s60                             // 000000007764: 863C3CFF FFFEFFFF
	s_and_b32 s61, 0xfffeffff, s61                             // 00000000776C: 863D3DFF FFFEFFFF
	v_cndmask_b32_e64 v58, v58, v151, s[60:61]                 // 000000007774: D100003A 00F32F3A
	s_lshl_b32 s60, s60, 1                                     // 00000000777C: 8E3C813C
	s_lshl_b32 s61, s61, 1                                     // 000000007780: 8E3D813D
	s_and_b32 s60, 0xfffeffff, s60                             // 000000007784: 863C3CFF FFFEFFFF
	s_and_b32 s61, 0xfffeffff, s61                             // 00000000778C: 863D3DFF FFFEFFFF
	v_cndmask_b32_e64 v59, v59, v151, s[60:61]                 // 000000007794: D100003B 00F32F3B
	s_branch label_0E72                                        // 00000000779C: BF820005

00000000000077a0 <label_0E6D>:
	v_mov_b32_e32 v56, v151                                    // 0000000077A0: 7E700397
	v_mov_b32_e32 v57, v151                                    // 0000000077A4: 7E720397
	v_mov_b32_e32 v58, v151                                    // 0000000077A8: 7E740397
	v_mov_b32_e32 v59, v151                                    // 0000000077AC: 7E760397
	s_branch label_0E72                                        // 0000000077B0: BF820000

00000000000077b4 <label_0E72>:
	s_cmp_lt_i32 s84, 0xc0                                     // 0000000077B4: BF04FF54 000000C0
	s_cbranch_scc0 label_0EC7                                  // 0000000077BC: BF84004D
	s_cmp_le_i32 s84, 64                                       // 0000000077C0: BF05C054
	s_cbranch_scc1 label_0E7E                                  // 0000000077C4: BF850007
	s_cmp_le_i32 s84, 0x80                                     // 0000000077C8: BF05FF54 00000080
	s_cbranch_scc1 label_0E96                                  // 0000000077D0: BF850017
	s_cmp_lt_i32 s84, 0xc0                                     // 0000000077D4: BF04FF54 000000C0
	s_cbranch_scc1 label_0EAE                                  // 0000000077DC: BF85002C
	s_branch label_0EC7                                        // 0000000077E0: BF820044

00000000000077e4 <label_0E7E>:
	s_mov_b32 s60, 0                                           // 0000000077E4: BEBC0080
	v_and_b32_e32 v28, 15, v0                                  // 0000000077E8: 2638008F
	v_add_u32_e64 v28, v28, s60                                // 0000000077EC: D134001C 0000791C
	v_mul_i32_i24_e64 v29, s46, 16                             // 0000000077F4: D106001D 0001202E
	v_add_u32_e32 v28, v28, v29                                // 0000000077FC: 68383B1C
	v_cmp_lt_u32_e64 s[60:61], v28, s84                        // 000000007800: D0C9003C 0000A91C
	s_nop 1                                                    // 000000007808: BF800001
	v_cndmask_b32_e64 v48, v151, v48, s[60:61]                 // 00000000780C: D1000030 00F26197
	v_cndmask_b32_e64 v49, v151, v49, s[60:61]                 // 000000007814: D1000031 00F26397
	v_cndmask_b32_e64 v50, v151, v50, s[60:61]                 // 00000000781C: D1000032 00F26597
	v_cndmask_b32_e64 v51, v151, v51, s[60:61]                 // 000000007824: D1000033 00F26797
	s_branch label_0EA9                                        // 00000000782C: BF820013

0000000000007830 <label_0E96>:
	s_mov_b32 s60, 64                                          // 000000007830: BEBC00C0
	v_and_b32_e32 v28, 15, v0                                  // 000000007834: 2638008F
	v_add_u32_e64 v28, v28, s60                                // 000000007838: D134001C 0000791C
	v_mul_i32_i24_e64 v29, s46, 16                             // 000000007840: D106001D 0001202E
	v_add_u32_e32 v28, v28, v29                                // 000000007848: 68383B1C
	v_cmp_lt_u32_e64 s[60:61], v28, s84                        // 00000000784C: D0C9003C 0000A91C
	s_nop 1                                                    // 000000007854: BF800001
	v_cndmask_b32_e64 v52, v151, v52, s[60:61]                 // 000000007858: D1000034 00F26997
	v_cndmask_b32_e64 v53, v151, v53, s[60:61]                 // 000000007860: D1000035 00F26B97
	v_cndmask_b32_e64 v54, v151, v54, s[60:61]                 // 000000007868: D1000036 00F26D97
	v_cndmask_b32_e64 v55, v151, v55, s[60:61]                 // 000000007870: D1000037 00F26F97
	s_branch label_0EC2                                        // 000000007878: BF820019

000000000000787c <label_0EA9>:
	v_mov_b32_e32 v52, v151                                    // 00000000787C: 7E680397
	v_mov_b32_e32 v53, v151                                    // 000000007880: 7E6A0397
	v_mov_b32_e32 v54, v151                                    // 000000007884: 7E6C0397
	v_mov_b32_e32 v55, v151                                    // 000000007888: 7E6E0397
	s_branch label_0EC2                                        // 00000000788C: BF820014

0000000000007890 <label_0EAE>:
	s_mov_b32 s60, 0x80                                        // 000000007890: BEBC00FF 00000080
	v_and_b32_e32 v28, 15, v0                                  // 000000007898: 2638008F
	v_add_u32_e64 v28, v28, s60                                // 00000000789C: D134001C 0000791C
	v_mul_i32_i24_e64 v29, s46, 16                             // 0000000078A4: D106001D 0001202E
	v_add_u32_e32 v28, v28, v29                                // 0000000078AC: 68383B1C
	v_cmp_lt_u32_e64 s[60:61], v28, s84                        // 0000000078B0: D0C9003C 0000A91C
	s_nop 1                                                    // 0000000078B8: BF800001
	v_cndmask_b32_e64 v56, v151, v56, s[60:61]                 // 0000000078BC: D1000038 00F27197
	v_cndmask_b32_e64 v57, v151, v57, s[60:61]                 // 0000000078C4: D1000039 00F27397
	v_cndmask_b32_e64 v58, v151, v58, s[60:61]                 // 0000000078CC: D100003A 00F27597
	v_cndmask_b32_e64 v59, v151, v59, s[60:61]                 // 0000000078D4: D100003B 00F27797
	s_branch label_0EC7                                        // 0000000078DC: BF820005

00000000000078e0 <label_0EC2>:
	v_mov_b32_e32 v56, v151                                    // 0000000078E0: 7E700397
	v_mov_b32_e32 v57, v151                                    // 0000000078E4: 7E720397
	v_mov_b32_e32 v58, v151                                    // 0000000078E8: 7E740397
	v_mov_b32_e32 v59, v151                                    // 0000000078EC: 7E760397
	s_branch label_0EC7                                        // 0000000078F0: BF820000

00000000000078f4 <label_0EC7>:
	s_addk_i32 s74, 0x1                                        // 0000000078F4: B74A0001
	s_waitcnt lgkmcnt(8)                                       // 0000000078F8: BF8CC87F
	s_barrier                                                  // 0000000078FC: BF8A0000
	v_mfma_f32_16x16x16_f16 v[72:75], v[92:93], a[96:97], 0    // 000000007900: D3CD0048 1202C15C
	ds_read_b128 a[144:147], v12 offset:4352                   // 000000007908: DBFE1100 9000000C
	ds_read_b128 a[148:151], v12 offset:4864                   // 000000007910: DBFE1300 9400000C
	v_mfma_f32_16x16x16_f16 v[72:75], v[94:95], a[98:99], v[72:75]// 000000007918: D3CD0048 1522C55E
	v_fma_f32 v48, v48, s57, -v124                             // 000000007920: D1CB0030 85F07330
	v_fma_f32 v49, v49, s57, -v125                             // 000000007928: D1CB0031 85F47331
	v_fma_f32 v50, v50, s57, -v126                             // 000000007930: D1CB0032 85F87332
	v_mfma_f32_16x16x16_f16 v[72:75], v[96:97], a[100:101], v[72:75]// 000000007938: D3CD0048 1522C960
	v_fma_f32 v51, v51, s57, -v127                             // 000000007940: D1CB0033 85FC7333
	v_fma_f32 v52, v52, s57, -v124                             // 000000007948: D1CB0034 85F07334
	v_fma_f32 v53, v53, s57, -v125                             // 000000007950: D1CB0035 85F47335
	v_mfma_f32_16x16x16_f16 v[72:75], v[98:99], a[102:103], v[72:75]// 000000007958: D3CD0048 1522CD62
	v_fma_f32 v54, v54, s57, -v126                             // 000000007960: D1CB0036 85F87336
	v_fma_f32 v55, v55, s57, -v127                             // 000000007968: D1CB0037 85FC7337
	v_fma_f32 v56, v56, s57, -v124                             // 000000007970: D1CB0038 85F07338
	v_mfma_f32_16x16x16_f16 v[72:75], v[100:101], a[104:105], v[72:75]// 000000007978: D3CD0048 1522D164
	ds_read_b128 a[152:155], v12 offset:6528                   // 000000007980: DBFE1980 9800000C
	ds_read_b128 a[156:159], v12 offset:7040                   // 000000007988: DBFE1B80 9C00000C
	v_mfma_f32_16x16x16_f16 v[72:75], v[102:103], a[106:107], v[72:75]// 000000007990: D3CD0048 1522D566
	v_fma_f32 v57, v57, s57, -v125                             // 000000007998: D1CB0039 85F47339
	v_fma_f32 v58, v58, s57, -v126                             // 0000000079A0: D1CB003A 85F8733A
	v_fma_f32 v59, v59, s57, -v127                             // 0000000079A8: D1CB003B 85FC733B
	v_mfma_f32_16x16x16_f16 v[72:75], v[104:105], a[108:109], v[72:75]// 0000000079B0: D3CD0048 1522D968
	v_exp_f32_e32 v48, v48                                     // 0000000079B8: 7E604130
	v_mfma_f32_16x16x16_f16 v[72:75], v[106:107], a[110:111], v[72:75]// 0000000079BC: D3CD0048 1522DD6A
	v_exp_f32_e32 v49, v49                                     // 0000000079C4: 7E624131
	v_mfma_f32_16x16x16_f16 v[76:79], v[92:93], a[112:113], 0  // 0000000079C8: D3CD004C 1202E15C
	ds_read_b64 v[136:137], v19 offset:24320                   // 0000000079D0: D8EC5F00 88000013
	ds_read_b64 v[138:139], v19 offset:26368                   // 0000000079D8: D8EC6700 8A000013
	v_mfma_f32_16x16x16_f16 v[76:79], v[94:95], a[114:115], v[76:79]// 0000000079E0: D3CD004C 1532E55E
	v_exp_f32_e32 v50, v50                                     // 0000000079E8: 7E644132
	v_mfma_f32_16x16x16_f16 v[76:79], v[96:97], a[116:117], v[76:79]// 0000000079EC: D3CD004C 1532E960
	ds_read_b64 v[140:141], v19 offset:28416                   // 0000000079F4: D8EC6F00 8C000013
	ds_read_b64 v[142:143], v19 offset:30464                   // 0000000079FC: D8EC7700 8E000013
	v_mfma_f32_16x16x16_f16 v[76:79], v[98:99], a[118:119], v[76:79]// 000000007A04: D3CD004C 1532ED62
	v_exp_f32_e32 v51, v51                                     // 000000007A0C: 7E664133
	v_mfma_f32_16x16x16_f16 v[76:79], v[100:101], a[120:121], v[76:79]// 000000007A10: D3CD004C 1532F164
	v_exp_f32_e32 v52, v52                                     // 000000007A18: 7E684134
	v_mfma_f32_16x16x16_f16 v[76:79], v[102:103], a[122:123], v[76:79]// 000000007A1C: D3CD004C 1532F566
	v_exp_f32_e32 v53, v53                                     // 000000007A24: 7E6A4135
	v_mfma_f32_16x16x16_f16 v[76:79], v[104:105], a[124:125], v[76:79]// 000000007A28: D3CD004C 1532F968
	v_exp_f32_e32 v54, v54                                     // 000000007A30: 7E6C4136
	v_mfma_f32_16x16x16_f16 v[76:79], v[106:107], a[126:127], v[76:79]// 000000007A34: D3CD004C 1532FD6A
	v_exp_f32_e32 v55, v55                                     // 000000007A3C: 7E6E4137
	v_mfma_f32_16x16x16_f16 v[80:83], v[92:93], a[128:129], 0  // 000000007A40: D3CD0050 1203015C
	v_exp_f32_e32 v56, v56                                     // 000000007A48: 7E704138
	v_mfma_f32_16x16x16_f16 v[80:83], v[94:95], a[130:131], v[80:83]// 000000007A4C: D3CD0050 1543055E
	v_exp_f32_e32 v57, v57                                     // 000000007A54: 7E724139
	v_mfma_f32_16x16x16_f16 v[80:83], v[96:97], a[132:133], v[80:83]// 000000007A58: D3CD0050 15430960
	v_exp_f32_e32 v58, v58                                     // 000000007A60: 7E74413A
	v_mfma_f32_16x16x16_f16 v[80:83], v[98:99], a[134:135], v[80:83]// 000000007A64: D3CD0050 15430D62
	v_exp_f32_e32 v59, v59                                     // 000000007A6C: 7E76413B
	v_mfma_f32_16x16x16_f16 v[80:83], v[100:101], a[136:137], v[80:83]// 000000007A70: D3CD0050 15431164
	v_cvt_pkrtz_f16_f32 v144, v48, v49                         // 000000007A78: D2960090 00026330
	v_cvt_pkrtz_f16_f32 v145, v50, v51                         // 000000007A80: D2960091 00026732
	v_cvt_pkrtz_f16_f32 v146, v52, v53                         // 000000007A88: D2960092 00026B34
	v_mfma_f32_16x16x16_f16 v[80:83], v[102:103], a[138:139], v[80:83]// 000000007A90: D3CD0050 15431566
	v_cvt_pkrtz_f16_f32 v147, v54, v55                         // 000000007A98: D2960093 00026F36
	v_cvt_pkrtz_f16_f32 v148, v56, v57                         // 000000007AA0: D2960094 00027338
	v_cvt_pkrtz_f16_f32 v149, v58, v59                         // 000000007AA8: D2960095 0002773A
	v_mfma_f32_16x16x16_f16 v[80:83], v[104:105], a[140:141], v[80:83]// 000000007AB0: D3CD0050 15431968
	v_add_u32_e32 v7, s66, v7                                  // 000000007AB8: 680E0E42
	v_add_u32_e32 v8, s66, v8                                  // 000000007ABC: 68101042
	v_mfma_f32_16x16x16_f16 v[80:83], v[106:107], a[142:143], v[80:83]// 000000007AC0: D3CD0050 15431D6A
	s_waitcnt lgkmcnt(0)                                       // 000000007AC8: BF8CC07F
	s_barrier                                                  // 000000007ACC: BF8A0000
	v_mfma_f32_16x16x16_f16 v[152:155], v[108:109], v[144:145], v[152:155]// 000000007AD0: D3CD0098 0663216C
	v_subrev_f32_dpp v72, v150, v72 quad_perm:[0,0,0,0] row_mask:0xf bank_mask:0xf// 000000007AD8: 069090FA FF000096
	v_subrev_f32_dpp v73, v150, v73 quad_perm:[1,1,1,1] row_mask:0xf bank_mask:0xf// 000000007AE0: 069292FA FF005596
	v_subrev_f32_dpp v74, v150, v74 quad_perm:[2,2,2,2] row_mask:0xf bank_mask:0xf// 000000007AE8: 069494FA FF00AA96
	v_mfma_f32_16x16x16_f16 v[156:159], v[110:111], v[144:145], v[156:159]// 000000007AF0: D3CD009C 0673216E
	v_subrev_f32_dpp v75, v150, v75 quad_perm:[3,3,3,3] row_mask:0xf bank_mask:0xf// 000000007AF8: 069696FA FF00FF96
	v_subrev_f32_dpp v76, v150, v76 quad_perm:[0,0,0,0] row_mask:0xf bank_mask:0xf// 000000007B00: 069898FA FF000096
	v_subrev_f32_dpp v77, v150, v77 quad_perm:[1,1,1,1] row_mask:0xf bank_mask:0xf// 000000007B08: 069A9AFA FF005596
	v_mfma_f32_16x16x16_f16 v[160:163], v[112:113], v[144:145], v[160:163]// 000000007B10: D3CD00A0 06832170
	v_mul_f32_e32 v72, v48, v72                                // 000000007B18: 0A909130
	v_mul_f32_e32 v73, v49, v73                                // 000000007B1C: 0A929331
	v_mul_f32_e32 v74, v50, v74                                // 000000007B20: 0A949532
	v_mfma_f32_16x16x16_f16 v[164:167], v[114:115], v[144:145], v[164:167]// 000000007B24: D3CD00A4 06932172
	v_mul_f32_e32 v75, v51, v75                                // 000000007B2C: 0A969733
	v_mul_f32_e32 v76, v52, v76                                // 000000007B30: 0A989934
	v_mul_f32_e32 v77, v53, v77                                // 000000007B34: 0A9A9B35
	v_mfma_f32_16x16x16_f16 v[168:171], v[116:117], v[144:145], v[168:171]// 000000007B38: D3CD00A8 06A32174
	v_cvt_pkrtz_f16_f32 v72, v72, v73                          // 000000007B40: D2960048 00029348
	v_cvt_pkrtz_f16_f32 v73, v74, v75                          // 000000007B48: D2960049 0002974A
	v_cvt_pkrtz_f16_f32 v74, v76, v77                          // 000000007B50: D296004A 00029B4C
	v_mfma_f32_16x16x16_f16 v[172:175], v[118:119], v[144:145], v[172:175]// 000000007B58: D3CD00AC 06B32176
	v_mov_b32_dpp v16, v72 quad_perm:[1,0,3,2] row_mask:0xf bank_mask:0xf// 000000007B60: 7E2002FA FF00B148
	v_perm_b32 v48, v16, v72, v15                              // 000000007B68: D1ED0030 043E9110
	v_mov_b32_dpp v16, v73 quad_perm:[1,0,3,2] row_mask:0xf bank_mask:0xf// 000000007B70: 7E2002FA FF00B149
	v_mfma_f32_16x16x16_f16 v[176:179], v[120:121], v[144:145], v[176:179]// 000000007B78: D3CD00B0 06C32178
	v_perm_b32 v49, v16, v73, v15                              // 000000007B80: D1ED0031 043E9310
	v_mov_b32_dpp v16, v74 quad_perm:[1,0,3,2] row_mask:0xf bank_mask:0xf// 000000007B88: 7E2002FA FF00B14A
	v_perm_b32 v50, v16, v74, v15                              // 000000007B90: D1ED0032 043E9510
	v_mfma_f32_16x16x16_f16 v[180:183], v[122:123], v[144:145], v[180:183]// 000000007B98: D3CD00B4 06D3217A
	ds_write_b32 v18, v48 offset:17408                         // 000000007BA0: D81A4400 00003012
	v_mfma_f32_16x16x16_f16 v[184:187], v[108:109], v[146:147], v[184:187]// 000000007BA8: D3CD00B8 06E3256C
	v_subrev_f32_dpp v78, v150, v78 quad_perm:[2,2,2,2] row_mask:0xf bank_mask:0xf// 000000007BB0: 069C9CFA FF00AA96
	v_subrev_f32_dpp v79, v150, v79 quad_perm:[3,3,3,3] row_mask:0xf bank_mask:0xf// 000000007BB8: 069E9EFA FF00FF96
	v_subrev_f32_dpp v80, v150, v80 quad_perm:[0,0,0,0] row_mask:0xf bank_mask:0xf// 000000007BC0: 06A0A0FA FF000096
	v_mfma_f32_16x16x16_f16 v[188:191], v[110:111], v[146:147], v[188:191]// 000000007BC8: D3CD00BC 06F3256E
	ds_write_b32 v18, v49 offset:17952                         // 000000007BD0: D81A4620 00003112
	v_mfma_f32_16x16x16_f16 v[192:195], v[112:113], v[146:147], v[192:195]// 000000007BD8: D3CD00C0 07032570
	v_subrev_f32_dpp v81, v150, v81 quad_perm:[1,1,1,1] row_mask:0xf bank_mask:0xf// 000000007BE0: 06A2A2FA FF005596
	v_subrev_f32_dpp v82, v150, v82 quad_perm:[2,2,2,2] row_mask:0xf bank_mask:0xf// 000000007BE8: 06A4A4FA FF00AA96
	v_subrev_f32_dpp v83, v150, v83 quad_perm:[3,3,3,3] row_mask:0xf bank_mask:0xf// 000000007BF0: 06A6A6FA FF00FF96
	v_mfma_f32_16x16x16_f16 v[196:199], v[114:115], v[146:147], v[196:199]// 000000007BF8: D3CD00C4 07132572
	ds_write_b32 v18, v50 offset:19712                         // 000000007C00: D81A4D00 00003212
	v_mfma_f32_16x16x16_f16 v[200:203], v[116:117], v[146:147], v[200:203]// 000000007C08: D3CD00C8 07232574
	v_mul_f32_e32 v78, v54, v78                                // 000000007C10: 0A9C9D36
	v_mul_f32_e32 v79, v55, v79                                // 000000007C14: 0A9E9F37
	v_mul_f32_e32 v80, v56, v80                                // 000000007C18: 0AA0A138
	v_mfma_f32_16x16x16_f16 v[204:207], v[118:119], v[146:147], v[204:207]// 000000007C1C: D3CD00CC 07332576
	v_mul_f32_e32 v81, v57, v81                                // 000000007C24: 0AA2A339
	v_mul_f32_e32 v82, v58, v82                                // 000000007C28: 0AA4A53A
	v_mul_f32_e32 v83, v59, v83                                // 000000007C2C: 0AA6A73B
	v_mfma_f32_16x16x16_f16 v[208:211], v[120:121], v[146:147], v[208:211]// 000000007C30: D3CD00D0 07432578
	v_cvt_pkrtz_f16_f32 v75, v78, v79                          // 000000007C38: D296004B 00029F4E
	v_cvt_pkrtz_f16_f32 v76, v80, v81                          // 000000007C40: D296004C 0002A350
	v_cvt_pkrtz_f16_f32 v77, v82, v83                          // 000000007C48: D296004D 0002A752
	v_mfma_f32_16x16x16_f16 v[212:215], v[122:123], v[146:147], v[212:215]// 000000007C50: D3CD00D4 0753257A
	v_mov_b32_dpp v16, v75 quad_perm:[1,0,3,2] row_mask:0xf bank_mask:0xf// 000000007C58: 7E2002FA FF00B14B
	v_perm_b32 v51, v16, v75, v15                              // 000000007C60: D1ED0033 043E9710
	v_mov_b32_dpp v16, v76 quad_perm:[1,0,3,2] row_mask:0xf bank_mask:0xf// 000000007C68: 7E2002FA FF00B14C
	v_mfma_f32_16x16x16_f16 v[216:219], v[108:109], v[148:149], v[216:219]// 000000007C70: D3CD00D8 0763296C
	v_perm_b32 v52, v16, v76, v15                              // 000000007C78: D1ED0034 043E9910
	v_mov_b32_dpp v16, v77 quad_perm:[1,0,3,2] row_mask:0xf bank_mask:0xf// 000000007C80: 7E2002FA FF00B14D
	v_perm_b32 v53, v16, v77, v15                              // 000000007C88: D1ED0035 043E9B10
	v_mfma_f32_16x16x16_f16 v[220:223], v[110:111], v[148:149], v[220:223]// 000000007C90: D3CD00DC 0773296E
	ds_write_b32 v18, v51 offset:20256                         // 000000007C98: D81A4F20 00003312
	v_mfma_f32_16x16x16_f16 v[224:227], v[112:113], v[148:149], v[224:227]// 000000007CA0: D3CD00E0 07832970
	v_mfma_f32_16x16x16_f16 v[228:231], v[114:115], v[148:149], v[228:231]// 000000007CA8: D3CD00E4 07932972
	ds_write_b32 v18, v52 offset:22016                         // 000000007CB0: D81A5600 00003412
	ds_write_b32 v18, v53 offset:22560                         // 000000007CB8: D81A5820 00003512
	v_mfma_f32_16x16x16_f16 v[232:235], v[116:117], v[148:149], v[232:235]// 000000007CC0: D3CD00E8 07A32974
	v_mfma_f32_16x16x16_f16 v[236:239], v[118:119], v[148:149], v[236:239]// 000000007CC8: D3CD00EC 07B32976
	ds_write_b32 v13, v84 offset:4352                          // 000000007CD0: D81A1100 0000540D
	ds_write_b32 v13, v85 offset:5408                          // 000000007CD8: D81A1520 0000550D
	v_mfma_f32_16x16x16_f16 v[240:243], v[120:121], v[148:149], v[240:243]// 000000007CE0: D3CD00F0 07C32978
	s_nop 0                                                    // 000000007CE8: BF800000
	s_nop 0                                                    // 000000007CEC: BF800000
	s_nop 0                                                    // 000000007CF0: BF800000
	v_mfma_f32_16x16x16_f16 v[244:247], v[122:123], v[148:149], v[244:247]// 000000007CF4: D3CD00F4 07D3297A
	ds_write_b32 v13, v86 offset:4480                          // 000000007CFC: D81A1180 0000560D
	ds_write_b32 v13, v87 offset:5536                          // 000000007D04: D81A15A0 0000570D
	s_barrier                                                  // 000000007D0C: BF8A0000
	v_mfma_f32_16x16x16_f16 a[160:163], a[144:145], v[72:73], a[160:163]// 000000007D10: D3CD80A0 0E829190
	buffer_atomic_add_f32 v136, v7, s[32:35], 0 offen          // 000000007D18: E1341000 80088807
	v_mfma_f32_16x16x16_f16 a[164:167], a[146:147], v[72:73], a[164:167]// 000000007D20: D3CD80A4 0E929192
	ds_read_b32 v124, v21 offset:50688                         // 000000007D28: D86CC600 7C000015
	ds_read_b32 v150, v21 offset:50944                         // 000000007D30: D86CC700 96000015
	v_mfma_f32_16x16x16_f16 a[168:171], a[148:149], v[72:73], a[168:171]// 000000007D38: D3CD80A8 0EA29194
	s_waitcnt lgkmcnt(6)                                       // 000000007D40: BF8CC67F
	s_barrier                                                  // 000000007D44: BF8A0000
	v_mfma_f32_16x16x16_f16 a[172:175], a[150:151], v[72:73], a[172:175]// 000000007D48: D3CD80AC 0EB29196
	ds_read_b128 v[48:51], v17 offset:17408                    // 000000007D50: D9FE4400 30000011
	v_mfma_f32_16x16x16_f16 a[176:179], a[152:153], v[72:73], a[176:179]// 000000007D58: D3CD80B0 0EC29198
	v_mfma_f32_16x16x16_f16 a[180:183], a[154:155], v[72:73], a[180:183]// 000000007D60: D3CD80B4 0ED2919A
	ds_read_b128 v[52:55], v17 offset:18560                    // 000000007D68: D9FE4880 34000011
	v_mfma_f32_16x16x16_f16 a[184:187], a[156:157], v[72:73], a[184:187]// 000000007D70: D3CD80B8 0EE2919C
	buffer_atomic_add_f32 v137, v8, s[32:35], 0 offen          // 000000007D78: E1341000 80088908
	v_mfma_f32_16x16x16_f16 a[188:191], a[158:159], v[72:73], a[188:191]// 000000007D80: D3CD80BC 0EF2919E
	ds_read_b128 v[56:59], v17 offset:19712                    // 000000007D88: D9FE4D00 38000011
	v_mfma_f32_16x16x16_f16 a[192:195], a[144:145], v[74:75], a[192:195]// 000000007D90: D3CD80C0 0F029590
	v_mfma_f32_16x16x16_f16 a[196:199], a[146:147], v[74:75], a[196:199]// 000000007D98: D3CD80C4 0F129592
	ds_read_b128 v[60:63], v17 offset:20864                    // 000000007DA0: D9FE5180 3C000011
	v_mfma_f32_16x16x16_f16 a[200:203], a[148:149], v[74:75], a[200:203]// 000000007DA8: D3CD80C8 0F229594
	v_mfma_f32_16x16x16_f16 a[204:207], a[150:151], v[74:75], a[204:207]// 000000007DB0: D3CD80CC 0F329596
	ds_read_b128 v[64:67], v17 offset:22016                    // 000000007DB8: D9FE5600 40000011
	v_mfma_f32_16x16x16_f16 a[208:211], a[152:153], v[74:75], a[208:211]// 000000007DC0: D3CD80D0 0F429598
	buffer_atomic_add_f32 v138, v7, s[32:35], 0 offen offset:128// 000000007DC8: E1341080 80088A07
	v_mfma_f32_16x16x16_f16 a[212:215], a[154:155], v[74:75], a[212:215]// 000000007DD0: D3CD80D4 0F52959A
	ds_read_b128 v[68:71], v17 offset:23168                    // 000000007DD8: D9FE5A80 44000011
	v_mfma_f32_16x16x16_f16 a[216:219], a[156:157], v[74:75], a[216:219]// 000000007DE0: D3CD80D8 0F62959C
	v_mfma_f32_16x16x16_f16 a[220:223], a[158:159], v[74:75], a[220:223]// 000000007DE8: D3CD80DC 0F72959E
	ds_write_b32 v13, v88 offset:13056                         // 000000007DF0: D81A3300 0000580D
	v_mfma_f32_16x16x16_f16 a[224:227], a[144:145], v[76:77], a[224:227]// 000000007DF8: D3CD80E0 0F829990
	v_mfma_f32_16x16x16_f16 a[228:231], a[146:147], v[76:77], a[228:231]// 000000007E00: D3CD80E4 0F929992
	ds_write_b32 v13, v89 offset:14112                         // 000000007E08: D81A3720 0000590D
	v_mfma_f32_16x16x16_f16 a[232:235], a[148:149], v[76:77], a[232:235]// 000000007E10: D3CD80E8 0FA29994
	buffer_atomic_add_f32 v139, v8, s[32:35], 0 offen offset:128// 000000007E18: E1341080 80088B08
	v_mfma_f32_16x16x16_f16 a[236:239], a[150:151], v[76:77], a[236:239]// 000000007E20: D3CD80EC 0FB29996
	ds_write_b32 v13, v90 offset:13184                         // 000000007E28: D81A3380 00005A0D
	v_mfma_f32_16x16x16_f16 a[240:243], a[152:153], v[76:77], a[240:243]// 000000007E30: D3CD80F0 0FC29998
	v_mfma_f32_16x16x16_f16 a[244:247], a[154:155], v[76:77], a[244:247]// 000000007E38: D3CD80F4 0FD2999A
	ds_write_b32 v13, v91 offset:14240                         // 000000007E40: D81A37A0 00005B0D
	v_mfma_f32_16x16x16_f16 a[248:251], a[156:157], v[76:77], a[248:251]// 000000007E48: D3CD80F8 0FE2999C
	v_mfma_f32_16x16x16_f16 a[252:255], a[158:159], v[76:77], a[252:255]// 000000007E50: D3CD80FC 0FF2999E
	s_waitcnt vmcnt(8) lgkmcnt(4)                              // 000000007E58: BF8C0478
	s_barrier                                                  // 000000007E5C: BF8A0000
	v_mfma_f32_16x16x16_f16 v[128:131], v[48:49], a[48:49], 0  // 000000007E60: D3CD0080 12026130
	v_mul_f32_e32 v124, s48, v124                              // 000000007E68: 0AF8F830
	s_nop 0                                                    // 000000007E6C: BF800000
	v_mfma_f32_16x16x16_f16 v[128:131], v[50:51], a[52:53], v[128:131]// 000000007E70: D3CD0080 16026932
	ds_read_b128 a[144:147], v10                               // 000000007E78: DBFE0000 9000000A
	v_mov_b32_e32 v32, 0                                       // 000000007E80: 7E400280
	s_mov_b64 exec, s[80:81]                                   // 000000007E84: BEFE0150
	buffer_load_dword v32, v1, s[8:11], 0 idxen                // 000000007E88: E0502000 80022001
	s_mov_b32 exec_lo, -1                                      // 000000007E90: BEFE00C1
	s_mov_b32 exec_hi, -1                                      // 000000007E94: BEFF00C1
	v_mfma_f32_16x16x16_f16 v[128:131], v[52:53], a[56:57], v[128:131]// 000000007E98: D3CD0080 16027134
	v_mfma_f32_16x16x16_f16 v[128:131], v[54:55], a[60:61], v[128:131]// 000000007EA0: D3CD0080 16027936
	ds_read_b128 a[148:151], v10 offset:512                    // 000000007EA8: DBFE0200 9400000A
	v_mov_b32_e32 v33, 0                                       // 000000007EB0: 7E420280
	s_mov_b64 exec, s[80:81]                                   // 000000007EB4: BEFE0150
	buffer_load_dword v33, v2, s[8:11], 0 idxen                // 000000007EB8: E0502000 80022102
	s_mov_b32 exec_lo, -1                                      // 000000007EC0: BEFE00C1
	s_mov_b32 exec_hi, -1                                      // 000000007EC4: BEFF00C1
	v_mfma_f32_16x16x16_f16 v[128:131], v[56:57], a[64:65], v[128:131]// 000000007EC8: D3CD0080 16028138
	v_perm_b32 v84, v37, v36, s63                              // 000000007ED0: D1ED0054 00FE4925
	v_perm_b32 v85, v37, v36, s64                              // 000000007ED8: D1ED0055 01024925
	v_mfma_f32_16x16x16_f16 v[128:131], v[58:59], a[68:69], v[128:131]// 000000007EE0: D3CD0080 1602893A
	ds_read_b128 a[152:155], v10 offset:2176                   // 000000007EE8: DBFE0880 9800000A
	v_mov_b32_e32 v34, 0                                       // 000000007EF0: 7E440280
	s_mov_b64 exec, s[80:81]                                   // 000000007EF4: BEFE0150
	buffer_load_dword v34, v3, s[8:11], 0 idxen                // 000000007EF8: E0502000 80022203
	s_mov_b32 exec_lo, -1                                      // 000000007F00: BEFE00C1
	s_mov_b32 exec_hi, -1                                      // 000000007F04: BEFF00C1
	v_mfma_f32_16x16x16_f16 v[128:131], v[60:61], a[72:73], v[128:131]// 000000007F08: D3CD0080 1602913C
	v_perm_b32 v86, v39, v38, s63                              // 000000007F10: D1ED0056 00FE4D27
	v_perm_b32 v87, v39, v38, s64                              // 000000007F18: D1ED0057 01024D27
	v_mfma_f32_16x16x16_f16 v[128:131], v[62:63], a[76:77], v[128:131]// 000000007F20: D3CD0080 1602993E
	ds_read_b128 a[156:159], v10 offset:2688                   // 000000007F28: DBFE0A80 9C00000A
	v_mov_b32_e32 v35, 0                                       // 000000007F30: 7E460280
	s_mov_b64 exec, s[80:81]                                   // 000000007F34: BEFE0150
	buffer_load_dword v35, v4, s[8:11], 0 idxen                // 000000007F38: E0502000 80022304
	s_mov_b32 exec_lo, -1                                      // 000000007F40: BEFE00C1
	s_mov_b32 exec_hi, -1                                      // 000000007F44: BEFF00C1
	v_mfma_f32_16x16x16_f16 v[128:131], v[64:65], a[80:81], v[128:131]// 000000007F48: D3CD0080 1602A140
	v_perm_b32 v88, v45, v44, s63                              // 000000007F50: D1ED0058 00FE592D
	v_perm_b32 v89, v45, v44, s64                              // 000000007F58: D1ED0059 0102592D
	v_mfma_f32_16x16x16_f16 v[128:131], v[66:67], a[84:85], v[128:131]// 000000007F60: D3CD0080 1602A942
	ds_read_b128 v[92:95], v10 offset:8704                     // 000000007F68: D9FE2200 5C00000A
	v_mov_b32_e32 v40, 0                                       // 000000007F70: 7E500280
	s_mov_b64 exec, s[80:81]                                   // 000000007F74: BEFE0150
	buffer_load_dword v40, v248, s[20:23], 0 idxen             // 000000007F78: E0502000 800528F8
	s_mov_b32 exec_lo, -1                                      // 000000007F80: BEFE00C1
	s_mov_b32 exec_hi, -1                                      // 000000007F84: BEFF00C1
	v_mfma_f32_16x16x16_f16 v[128:131], v[68:69], a[88:89], v[128:131]// 000000007F88: D3CD0080 1602B144
	v_perm_b32 v90, v47, v46, s63                              // 000000007F90: D1ED005A 00FE5D2F
	v_perm_b32 v91, v47, v46, s64                              // 000000007F98: D1ED005B 01025D2F
	v_mfma_f32_16x16x16_f16 v[128:131], v[70:71], a[92:93], v[128:131]// 000000007FA0: D3CD0080 1602B946
	ds_read_b128 v[96:99], v10 offset:9216                     // 000000007FA8: D9FE2400 6000000A
	v_mov_b32_e32 v41, 0                                       // 000000007FB0: 7E520280
	s_mov_b64 exec, s[80:81]                                   // 000000007FB4: BEFE0150
	buffer_load_dword v41, v249, s[20:23], 0 idxen             // 000000007FB8: E0502000 800529F9
	s_mov_b32 exec_lo, -1                                      // 000000007FC0: BEFE00C1
	s_mov_b32 exec_hi, -1                                      // 000000007FC4: BEFF00C1
	v_mfma_f32_16x16x16_f16 v[132:135], v[48:49], a[50:51], 0  // 000000007FC8: D3CD0084 12026530
	v_mov_b32_dpp v127, v124 quad_perm:[3,3,3,3] row_mask:0xf bank_mask:0xf// 000000007FD0: 7EFE02FA FF00FF7C
	v_mov_b32_dpp v126, v124 quad_perm:[2,2,2,2] row_mask:0xf bank_mask:0xf// 000000007FD8: 7EFC02FA FF00AA7C
	v_mfma_f32_16x16x16_f16 v[132:135], v[50:51], a[54:55], v[132:135]// 000000007FE0: D3CD0084 16126D32
	ds_read_b128 v[100:103], v10 offset:10880                  // 000000007FE8: D9FE2A80 6400000A
	v_mov_b32_e32 v42, 0                                       // 000000007FF0: 7E540280
	s_mov_b64 exec, s[80:81]                                   // 000000007FF4: BEFE0150
	buffer_load_dword v42, v250, s[20:23], 0 idxen             // 000000007FF8: E0502000 80052AFA
	s_mov_b32 exec_lo, -1                                      // 000000008000: BEFE00C1
	s_mov_b32 exec_hi, -1                                      // 000000008004: BEFF00C1
	v_mfma_f32_16x16x16_f16 v[132:135], v[52:53], a[58:59], v[132:135]// 000000008008: D3CD0084 16127534
	v_mov_b32_dpp v125, v124 quad_perm:[1,1,1,1] row_mask:0xf bank_mask:0xf// 000000008010: 7EFA02FA FF00557C
	v_mov_b32_dpp v124, v124 quad_perm:[0,0,0,0] row_mask:0xf bank_mask:0xf// 000000008018: 7EF802FA FF00007C
	s_add_u32 s60, 64, s59                                     // 000000008020: 803C3BC0
	v_mfma_f32_16x16x16_f16 v[132:135], v[54:55], a[62:63], v[132:135]// 000000008024: D3CD0084 16127D36
	ds_read_b128 v[104:107], v10 offset:11392                  // 00000000802C: D9FE2C80 6800000A
	v_mov_b32_e32 v43, 0                                       // 000000008034: 7E560280
	s_mov_b64 exec, s[80:81]                                   // 000000008038: BEFE0150
	buffer_load_dword v43, v251, s[20:23], 0 idxen             // 00000000803C: E0502000 80052BFB
	s_mov_b32 exec_lo, -1                                      // 000000008044: BEFE00C1
	s_mov_b32 exec_hi, -1                                      // 000000008048: BEFF00C1
	v_mfma_f32_16x16x16_f16 v[132:135], v[56:57], a[66:67], v[132:135]// 00000000804C: D3CD0084 16128538
	s_cmp_lt_u32 s60, s58                                      // 000000008054: BF0A3A3C
	s_cselect_b32 s68, s68, 0                                  // 000000008058: 85448044
	s_cselect_b32 s100, s100, 0                                // 00000000805C: 85648064
	s_cselect_b32 s69, s69, 0                                  // 000000008060: 85458045
	v_mfma_f32_16x16x16_f16 v[132:135], v[58:59], a[70:71], v[132:135]// 000000008064: D3CD0084 16128D3A
	buffer_load_dword v9, s[24:27], 0 idxen lds                // 00000000806C: E0512000 80060009
	v_mfma_f32_16x16x16_f16 v[132:135], v[60:61], a[74:75], v[132:135]// 000000008074: D3CD0084 1612953C
	v_add_u32_e32 v1, s68, v1                                  // 00000000807C: 68020244
	v_add_u32_e32 v2, s68, v2                                  // 000000008080: 68040444
	v_add_u32_e32 v3, s68, v3                                  // 000000008084: 68060644
	;; [unrolled: 1-line block ×3, first 2 shown]
	v_mfma_f32_16x16x16_f16 v[132:135], v[62:63], a[78:79], v[132:135]// 00000000808C: D3CD0084 16129D3E
	v_add_u32_e32 v248, s100, v248                             // 000000008094: 69F1F064
	v_add_u32_e32 v249, s100, v249                             // 000000008098: 69F3F264
	v_add_u32_e32 v250, s100, v250                             // 00000000809C: 69F5F464
	v_add_u32_e32 v251, s100, v251                             // 0000000080A0: 69F7F664
	v_mfma_f32_16x16x16_f16 v[132:135], v[64:65], a[82:83], v[132:135]// 0000000080A4: D3CD0084 1612A540
	s_mov_b32 m0, s79                                          // 0000000080AC: BEFC004F
	v_add_u32_e32 v9, s69, v9                                  // 0000000080B0: 68121245
	v_mfma_f32_16x16x16_f16 v[132:135], v[66:67], a[86:87], v[132:135]// 0000000080B4: D3CD0084 1612AD42
	s_cmp_ge_u32 s59, s73                                      // 0000000080BC: BF09493B
	s_cselect_b32 s66, s67, s66                                // 0000000080C0: 85424243
	v_mfma_f32_16x16x16_f16 v[132:135], v[68:69], a[90:91], v[132:135]// 0000000080C4: D3CD0084 1612B544
	s_addk_i32 s59, 0x10                                       // 0000000080CC: B73B0010
	s_nop 0                                                    // 0000000080D0: BF800000
	s_cmp_lt_i32 s59, s58                                      // 0000000080D4: BF043A3B
	v_mfma_f32_16x16x16_f16 v[132:135], v[70:71], a[94:95], v[132:135]// 0000000080D8: D3CD0084 1612BD46
	s_cbranch_scc0 label_10C4                                  // 0000000080E0: BF840001
	s_branch label_0A6F                                        // 0000000080E4: BF82F9B5

00000000000080e8 <label_10C4>:
	s_nop 0                                                    // 0000000080E8: BF800000
	s_nop 0                                                    // 0000000080EC: BF800000
	s_nop 0                                                    // 0000000080F0: BF800000
	s_nop 0                                                    // 0000000080F4: BF800000
	s_nop 0                                                    // 0000000080F8: BF800000
	s_nop 0                                                    // 0000000080FC: BF800000
	s_branch label_1720                                        // 000000008100: BF82064B

0000000000008104 <label_10CB>:
	s_waitcnt lgkmcnt(0)                                       // 000000008104: BF8CC07F
	s_barrier                                                  // 000000008108: BF8A0000
	v_mfma_f32_16x16x16_f16 v[48:51], a[144:145], a[0:1], 0    // 00000000810C: D3CD0030 1A020190
	v_mul_f32_e32 v128, s47, v128                              // 000000008114: 0B01002F
	v_mul_f32_e32 v129, s47, v129                              // 000000008118: 0B03022F
	v_mfma_f32_16x16x16_f16 v[48:51], a[146:147], a[2:3], v[48:51]// 00000000811C: D3CD0030 1CC20592
	ds_write_b32 v11, v44 offset:8704                          // 000000008124: D81A2200 00002C0B
	ds_write_b32 v11, v45 offset:9760                          // 00000000812C: D81A2620 00002D0B
	v_mfma_f32_16x16x16_f16 v[48:51], a[148:149], a[4:5], v[48:51]// 000000008134: D3CD0030 1CC20994
	v_mul_f32_e32 v130, s47, v130                              // 00000000813C: 0B05042F
	v_mul_f32_e32 v131, s47, v131                              // 000000008140: 0B07062F
	v_mfma_f32_16x16x16_f16 v[48:51], a[150:151], a[6:7], v[48:51]// 000000008144: D3CD0030 1CC20D96
	ds_write_b32 v11, v46 offset:8832                          // 00000000814C: D81A2280 00002E0B
	ds_write_b32 v11, v47 offset:9888                          // 000000008154: D81A26A0 00002F0B
	v_mfma_f32_16x16x16_f16 v[48:51], a[152:153], a[8:9], v[48:51]// 00000000815C: D3CD0030 1CC21198
	v_mul_f32_e32 v132, s47, v132                              // 000000008164: 0B09082F
	v_mul_f32_e32 v133, s47, v133                              // 000000008168: 0B0B0A2F
	v_mfma_f32_16x16x16_f16 v[48:51], a[154:155], a[10:11], v[48:51]// 00000000816C: D3CD0030 1CC2159A
	ds_write_b64 v20, v[128:129] offset:24320                  // 000000008174: D89A5F00 00008014
	v_mfma_f32_16x16x16_f16 v[48:51], a[156:157], a[12:13], v[48:51]// 00000000817C: D3CD0030 1CC2199C
	v_mul_f32_e32 v134, s47, v134                              // 000000008184: 0B0D0C2F
	v_mul_f32_e32 v135, s47, v135                              // 000000008188: 0B0F0E2F
	v_mfma_f32_16x16x16_f16 v[48:51], a[158:159], a[14:15], v[48:51]// 00000000818C: D3CD0030 1CC21D9E
	ds_write_b64 v20, v[130:131] offset:24832                  // 000000008194: D89A6100 00008214
	v_mfma_f32_16x16x16_f16 v[52:55], a[144:145], a[16:17], 0  // 00000000819C: D3CD0034 1A022190
	buffer_atomic_add_f32 v140, v7, s[32:35], 0 offen offset:256// 0000000081A4: E1341100 80088C07
	v_mfma_f32_16x16x16_f16 v[52:55], a[146:147], a[18:19], v[52:55]// 0000000081AC: D3CD0034 1CD22592
	ds_write_b64 v20, v[132:133] offset:25344                  // 0000000081B4: D89A6300 00008414
	v_mfma_f32_16x16x16_f16 v[52:55], a[148:149], a[20:21], v[52:55]// 0000000081BC: D3CD0034 1CD22994
	v_mfma_f32_16x16x16_f16 v[52:55], a[150:151], a[22:23], v[52:55]// 0000000081C4: D3CD0034 1CD22D96
	ds_write_b64 v20, v[134:135] offset:25856                  // 0000000081CC: D89A6500 00008614
	v_mfma_f32_16x16x16_f16 v[52:55], a[152:153], a[24:25], v[52:55]// 0000000081D4: D3CD0034 1CD23198
	buffer_atomic_add_f32 v141, v8, s[32:35], 0 offen offset:256// 0000000081DC: E1341100 80088D08
	v_mfma_f32_16x16x16_f16 v[52:55], a[154:155], a[26:27], v[52:55]// 0000000081E4: D3CD0034 1CD2359A
	ds_read_b128 v[108:111], v12 offset:13056                  // 0000000081EC: D9FE3300 6C00000C
	ds_write_b32 v11, v36                                      // 0000000081F4: D81A0000 0000240B
	v_mfma_f32_16x16x16_f16 v[52:55], a[156:157], a[28:29], v[52:55]// 0000000081FC: D3CD0034 1CD2399C
	v_mfma_f32_16x16x16_f16 v[52:55], a[158:159], a[30:31], v[52:55]// 000000008204: D3CD0034 1CD23D9E
	v_mfma_f32_16x16x16_f16 v[56:59], a[144:145], a[32:33], 0  // 00000000820C: D3CD0038 1A024190
	ds_read_b128 v[112:115], v12 offset:13568                  // 000000008214: D9FE3500 7000000C
	ds_write_b32 v11, v37 offset:1056                          // 00000000821C: D81A0420 0000250B
	v_mfma_f32_16x16x16_f16 v[56:59], a[146:147], a[34:35], v[56:59]// 000000008224: D3CD0038 1CE24592
	buffer_atomic_add_f32 v142, v7, s[32:35], 0 offen offset:384// 00000000822C: E1341180 80088E07
	v_mfma_f32_16x16x16_f16 v[56:59], a[148:149], a[36:37], v[56:59]// 000000008234: D3CD0038 1CE24994
	v_mfma_f32_16x16x16_f16 v[56:59], a[150:151], a[38:39], v[56:59]// 00000000823C: D3CD0038 1CE24D96
	ds_read_b128 v[116:119], v12 offset:15232                  // 000000008244: D9FE3B80 7400000C
	ds_write_b32 v11, v38 offset:128                           // 00000000824C: D81A0080 0000260B
	v_mfma_f32_16x16x16_f16 v[56:59], a[152:153], a[40:41], v[56:59]// 000000008254: D3CD0038 1CE25198
	v_mfma_f32_16x16x16_f16 v[56:59], a[154:155], a[42:43], v[56:59]// 00000000825C: D3CD0038 1CE2559A
	buffer_atomic_add_f32 v143, v8, s[32:35], 0 offen offset:384// 000000008264: E1341180 80088F08
	v_mfma_f32_16x16x16_f16 v[56:59], a[156:157], a[44:45], v[56:59]// 00000000826C: D3CD0038 1CE2599C
	ds_read_b128 v[120:123], v12 offset:15744                  // 000000008274: D9FE3D80 7800000C
	ds_write_b32 v11, v39 offset:1184                          // 00000000827C: D81A04A0 0000270B
	v_mfma_f32_16x16x16_f16 v[56:59], a[158:159], a[46:47], v[56:59]// 000000008284: D3CD0038 1CE25D9E
	s_cmp_lt_i32 s74, 12                                       // 00000000828C: BF048C4A
	s_cbranch_scc0 label_11A4                                  // 000000008290: BF840075
	s_mov_b32 s60, 0xffe0fffe                                  // 000000008294: BEBC00FF FFE0FFFE
	s_mov_b32 s61, 0xe000fe00                                  // 00000000829C: BEBD00FF E000FE00
	s_nop 0                                                    // 0000000082A4: BF800000
	s_add_u32 s62, 0, s46                                      // 0000000082A8: 803E2E80
	s_cmp_lt_i32 s74, s62                                      // 0000000082AC: BF043E4A
	s_cbranch_scc1 label_115F                                  // 0000000082B0: BF850028
	s_cmp_eq_i32 s74, s62                                      // 0000000082B4: BF003E4A
	s_cbranch_scc1 label_1144                                  // 0000000082B8: BF85000B
	s_add_u32 s62, 4, s46                                      // 0000000082BC: 803E2E84
	s_cmp_lt_i32 s74, s62                                      // 0000000082C0: BF043E4A
	s_cbranch_scc1 label_117F                                  // 0000000082C4: BF850043
	s_cmp_eq_i32 s74, s62                                      // 0000000082C8: BF003E4A
	s_cbranch_scc1 label_1164                                  // 0000000082CC: BF850026
	s_add_u32 s62, 8, s46                                      // 0000000082D0: 803E2E88
	s_cmp_lt_i32 s74, s62                                      // 0000000082D4: BF043E4A
	s_cbranch_scc1 label_119F                                  // 0000000082D8: BF85005E
	s_cmp_eq_i32 s74, s62                                      // 0000000082DC: BF003E4A
	s_cbranch_scc1 label_1184                                  // 0000000082E0: BF850041
	s_branch label_11A4                                        // 0000000082E4: BF820060

00000000000082e8 <label_1144>:
	v_cndmask_b32_e64 v48, v48, v151, s[60:61]                 // 0000000082E8: D1000030 00F32F30
	s_lshl_b32 s60, s60, 1                                     // 0000000082F0: 8E3C813C
	s_lshl_b32 s61, s61, 1                                     // 0000000082F4: 8E3D813D
	s_and_b32 s60, 0xfffeffff, s60                             // 0000000082F8: 863C3CFF FFFEFFFF
	s_and_b32 s61, 0xfffeffff, s61                             // 000000008300: 863D3DFF FFFEFFFF
	v_cndmask_b32_e64 v49, v49, v151, s[60:61]                 // 000000008308: D1000031 00F32F31
	s_lshl_b32 s60, s60, 1                                     // 000000008310: 8E3C813C
	s_lshl_b32 s61, s61, 1                                     // 000000008314: 8E3D813D
	s_and_b32 s60, 0xfffeffff, s60                             // 000000008318: 863C3CFF FFFEFFFF
	s_and_b32 s61, 0xfffeffff, s61                             // 000000008320: 863D3DFF FFFEFFFF
	v_cndmask_b32_e64 v50, v50, v151, s[60:61]                 // 000000008328: D1000032 00F32F32
	s_lshl_b32 s60, s60, 1                                     // 000000008330: 8E3C813C
	s_lshl_b32 s61, s61, 1                                     // 000000008334: 8E3D813D
	s_and_b32 s60, 0xfffeffff, s60                             // 000000008338: 863C3CFF FFFEFFFF
	s_and_b32 s61, 0xfffeffff, s61                             // 000000008340: 863D3DFF FFFEFFFF
	v_cndmask_b32_e64 v51, v51, v151, s[60:61]                 // 000000008348: D1000033 00F32F33
	s_branch label_117F                                        // 000000008350: BF820020

0000000000008354 <label_115F>:
	v_mov_b32_e32 v48, v151                                    // 000000008354: 7E600397
	v_mov_b32_e32 v49, v151                                    // 000000008358: 7E620397
	v_mov_b32_e32 v50, v151                                    // 00000000835C: 7E640397
	v_mov_b32_e32 v51, v151                                    // 000000008360: 7E660397
	s_branch label_117F                                        // 000000008364: BF82001B

0000000000008368 <label_1164>:
	v_cndmask_b32_e64 v52, v52, v151, s[60:61]                 // 000000008368: D1000034 00F32F34
	s_lshl_b32 s60, s60, 1                                     // 000000008370: 8E3C813C
	s_lshl_b32 s61, s61, 1                                     // 000000008374: 8E3D813D
	s_and_b32 s60, 0xfffeffff, s60                             // 000000008378: 863C3CFF FFFEFFFF
	s_and_b32 s61, 0xfffeffff, s61                             // 000000008380: 863D3DFF FFFEFFFF
	v_cndmask_b32_e64 v53, v53, v151, s[60:61]                 // 000000008388: D1000035 00F32F35
	s_lshl_b32 s60, s60, 1                                     // 000000008390: 8E3C813C
	s_lshl_b32 s61, s61, 1                                     // 000000008394: 8E3D813D
	s_and_b32 s60, 0xfffeffff, s60                             // 000000008398: 863C3CFF FFFEFFFF
	s_and_b32 s61, 0xfffeffff, s61                             // 0000000083A0: 863D3DFF FFFEFFFF
	v_cndmask_b32_e64 v54, v54, v151, s[60:61]                 // 0000000083A8: D1000036 00F32F36
	s_lshl_b32 s60, s60, 1                                     // 0000000083B0: 8E3C813C
	s_lshl_b32 s61, s61, 1                                     // 0000000083B4: 8E3D813D
	s_and_b32 s60, 0xfffeffff, s60                             // 0000000083B8: 863C3CFF FFFEFFFF
	s_and_b32 s61, 0xfffeffff, s61                             // 0000000083C0: 863D3DFF FFFEFFFF
	v_cndmask_b32_e64 v55, v55, v151, s[60:61]                 // 0000000083C8: D1000037 00F32F37
	s_branch label_119F                                        // 0000000083D0: BF820020

00000000000083d4 <label_117F>:
	v_mov_b32_e32 v52, v151                                    // 0000000083D4: 7E680397
	v_mov_b32_e32 v53, v151                                    // 0000000083D8: 7E6A0397
	v_mov_b32_e32 v54, v151                                    // 0000000083DC: 7E6C0397
	v_mov_b32_e32 v55, v151                                    // 0000000083E0: 7E6E0397
	s_branch label_119F                                        // 0000000083E4: BF82001B

00000000000083e8 <label_1184>:
	v_cndmask_b32_e64 v56, v56, v151, s[60:61]                 // 0000000083E8: D1000038 00F32F38
	s_lshl_b32 s60, s60, 1                                     // 0000000083F0: 8E3C813C
	s_lshl_b32 s61, s61, 1                                     // 0000000083F4: 8E3D813D
	s_and_b32 s60, 0xfffeffff, s60                             // 0000000083F8: 863C3CFF FFFEFFFF
	s_and_b32 s61, 0xfffeffff, s61                             // 000000008400: 863D3DFF FFFEFFFF
	v_cndmask_b32_e64 v57, v57, v151, s[60:61]                 // 000000008408: D1000039 00F32F39
	s_lshl_b32 s60, s60, 1                                     // 000000008410: 8E3C813C
	s_lshl_b32 s61, s61, 1                                     // 000000008414: 8E3D813D
	s_and_b32 s60, 0xfffeffff, s60                             // 000000008418: 863C3CFF FFFEFFFF
	s_and_b32 s61, 0xfffeffff, s61                             // 000000008420: 863D3DFF FFFEFFFF
	v_cndmask_b32_e64 v58, v58, v151, s[60:61]                 // 000000008428: D100003A 00F32F3A
	s_lshl_b32 s60, s60, 1                                     // 000000008430: 8E3C813C
	s_lshl_b32 s61, s61, 1                                     // 000000008434: 8E3D813D
	s_and_b32 s60, 0xfffeffff, s60                             // 000000008438: 863C3CFF FFFEFFFF
	s_and_b32 s61, 0xfffeffff, s61                             // 000000008440: 863D3DFF FFFEFFFF
	v_cndmask_b32_e64 v59, v59, v151, s[60:61]                 // 000000008448: D100003B 00F32F3B
	s_branch label_11A4                                        // 000000008450: BF820005

0000000000008454 <label_119F>:
	v_mov_b32_e32 v56, v151                                    // 000000008454: 7E700397
	v_mov_b32_e32 v57, v151                                    // 000000008458: 7E720397
	v_mov_b32_e32 v58, v151                                    // 00000000845C: 7E740397
	v_mov_b32_e32 v59, v151                                    // 000000008460: 7E760397
	s_branch label_11A4                                        // 000000008464: BF820000

0000000000008468 <label_11A4>:
	s_cmp_lt_i32 s84, 0xc0                                     // 000000008468: BF04FF54 000000C0
	s_cbranch_scc0 label_11F9                                  // 000000008470: BF84004D
	s_cmp_le_i32 s84, 64                                       // 000000008474: BF05C054
	s_cbranch_scc1 label_11B0                                  // 000000008478: BF850007
	s_cmp_le_i32 s84, 0x80                                     // 00000000847C: BF05FF54 00000080
	s_cbranch_scc1 label_11C8                                  // 000000008484: BF850017
	s_cmp_lt_i32 s84, 0xc0                                     // 000000008488: BF04FF54 000000C0
	s_cbranch_scc1 label_11E0                                  // 000000008490: BF85002C
	s_branch label_11F9                                        // 000000008494: BF820044

0000000000008498 <label_11B0>:
	s_mov_b32 s60, 0                                           // 000000008498: BEBC0080
	v_and_b32_e32 v28, 15, v0                                  // 00000000849C: 2638008F
	v_add_u32_e64 v28, v28, s60                                // 0000000084A0: D134001C 0000791C
	v_mul_i32_i24_e64 v29, s46, 16                             // 0000000084A8: D106001D 0001202E
	v_add_u32_e32 v28, v28, v29                                // 0000000084B0: 68383B1C
	v_cmp_lt_u32_e64 s[60:61], v28, s84                        // 0000000084B4: D0C9003C 0000A91C
	s_nop 1                                                    // 0000000084BC: BF800001
	v_cndmask_b32_e64 v48, v151, v48, s[60:61]                 // 0000000084C0: D1000030 00F26197
	v_cndmask_b32_e64 v49, v151, v49, s[60:61]                 // 0000000084C8: D1000031 00F26397
	v_cndmask_b32_e64 v50, v151, v50, s[60:61]                 // 0000000084D0: D1000032 00F26597
	v_cndmask_b32_e64 v51, v151, v51, s[60:61]                 // 0000000084D8: D1000033 00F26797
	s_branch label_11DB                                        // 0000000084E0: BF820013

00000000000084e4 <label_11C8>:
	s_mov_b32 s60, 64                                          // 0000000084E4: BEBC00C0
	v_and_b32_e32 v28, 15, v0                                  // 0000000084E8: 2638008F
	v_add_u32_e64 v28, v28, s60                                // 0000000084EC: D134001C 0000791C
	v_mul_i32_i24_e64 v29, s46, 16                             // 0000000084F4: D106001D 0001202E
	v_add_u32_e32 v28, v28, v29                                // 0000000084FC: 68383B1C
	v_cmp_lt_u32_e64 s[60:61], v28, s84                        // 000000008500: D0C9003C 0000A91C
	s_nop 1                                                    // 000000008508: BF800001
	v_cndmask_b32_e64 v52, v151, v52, s[60:61]                 // 00000000850C: D1000034 00F26997
	v_cndmask_b32_e64 v53, v151, v53, s[60:61]                 // 000000008514: D1000035 00F26B97
	v_cndmask_b32_e64 v54, v151, v54, s[60:61]                 // 00000000851C: D1000036 00F26D97
	v_cndmask_b32_e64 v55, v151, v55, s[60:61]                 // 000000008524: D1000037 00F26F97
	s_branch label_11F4                                        // 00000000852C: BF820019

0000000000008530 <label_11DB>:
	v_mov_b32_e32 v52, v151                                    // 000000008530: 7E680397
	v_mov_b32_e32 v53, v151                                    // 000000008534: 7E6A0397
	v_mov_b32_e32 v54, v151                                    // 000000008538: 7E6C0397
	v_mov_b32_e32 v55, v151                                    // 00000000853C: 7E6E0397
	s_branch label_11F4                                        // 000000008540: BF820014

0000000000008544 <label_11E0>:
	s_mov_b32 s60, 0x80                                        // 000000008544: BEBC00FF 00000080
	v_and_b32_e32 v28, 15, v0                                  // 00000000854C: 2638008F
	v_add_u32_e64 v28, v28, s60                                // 000000008550: D134001C 0000791C
	v_mul_i32_i24_e64 v29, s46, 16                             // 000000008558: D106001D 0001202E
	v_add_u32_e32 v28, v28, v29                                // 000000008560: 68383B1C
	v_cmp_lt_u32_e64 s[60:61], v28, s84                        // 000000008564: D0C9003C 0000A91C
	s_nop 1                                                    // 00000000856C: BF800001
	v_cndmask_b32_e64 v56, v151, v56, s[60:61]                 // 000000008570: D1000038 00F27197
	v_cndmask_b32_e64 v57, v151, v57, s[60:61]                 // 000000008578: D1000039 00F27397
	v_cndmask_b32_e64 v58, v151, v58, s[60:61]                 // 000000008580: D100003A 00F27597
	v_cndmask_b32_e64 v59, v151, v59, s[60:61]                 // 000000008588: D100003B 00F27797
	s_branch label_11F9                                        // 000000008590: BF820005

0000000000008594 <label_11F4>:
	v_mov_b32_e32 v56, v151                                    // 000000008594: 7E700397
	v_mov_b32_e32 v57, v151                                    // 000000008598: 7E720397
	v_mov_b32_e32 v58, v151                                    // 00000000859C: 7E740397
	v_mov_b32_e32 v59, v151                                    // 0000000085A0: 7E760397
	s_branch label_11F9                                        // 0000000085A4: BF820000

00000000000085a8 <label_11F9>:
	s_addk_i32 s74, 0x1                                        // 0000000085A8: B74A0001
	s_waitcnt lgkmcnt(8)                                       // 0000000085AC: BF8CC87F
	s_barrier                                                  // 0000000085B0: BF8A0000
	v_mfma_f32_16x16x16_f16 v[72:75], v[92:93], a[96:97], 0    // 0000000085B4: D3CD0048 1202C15C
	v_fma_f32 v48, v48, s57, -v124                             // 0000000085BC: D1CB0030 85F07330
	v_fma_f32 v49, v49, s57, -v125                             // 0000000085C4: D1CB0031 85F47331
	v_fma_f32 v50, v50, s57, -v126                             // 0000000085CC: D1CB0032 85F87332
	v_mfma_f32_16x16x16_f16 v[72:75], v[94:95], a[98:99], v[72:75]// 0000000085D4: D3CD0048 1522C55E
	ds_read_b128 a[144:147], v12 offset:4352                   // 0000000085DC: DBFE1100 9000000C
	ds_read_b128 a[148:151], v12 offset:4864                   // 0000000085E4: DBFE1300 9400000C
	v_mfma_f32_16x16x16_f16 v[72:75], v[96:97], a[100:101], v[72:75]// 0000000085EC: D3CD0048 1522C960
	v_fma_f32 v51, v51, s57, -v127                             // 0000000085F4: D1CB0033 85FC7333
	v_fma_f32 v52, v52, s57, -v124                             // 0000000085FC: D1CB0034 85F07334
	v_fma_f32 v53, v53, s57, -v125                             // 000000008604: D1CB0035 85F47335
	v_mfma_f32_16x16x16_f16 v[72:75], v[98:99], a[102:103], v[72:75]// 00000000860C: D3CD0048 1522CD62
	v_fma_f32 v54, v54, s57, -v126                             // 000000008614: D1CB0036 85F87336
	v_fma_f32 v55, v55, s57, -v127                             // 00000000861C: D1CB0037 85FC7337
	v_fma_f32 v56, v56, s57, -v124                             // 000000008624: D1CB0038 85F07338
	v_mfma_f32_16x16x16_f16 v[72:75], v[100:101], a[104:105], v[72:75]// 00000000862C: D3CD0048 1522D164
	v_fma_f32 v57, v57, s57, -v125                             // 000000008634: D1CB0039 85F47339
	v_fma_f32 v58, v58, s57, -v126                             // 00000000863C: D1CB003A 85F8733A
	v_fma_f32 v59, v59, s57, -v127                             // 000000008644: D1CB003B 85FC733B
	v_mfma_f32_16x16x16_f16 v[72:75], v[102:103], a[106:107], v[72:75]// 00000000864C: D3CD0048 1522D566
	ds_read_b128 a[152:155], v12 offset:6528                   // 000000008654: DBFE1980 9800000C
	ds_read_b128 a[156:159], v12 offset:7040                   // 00000000865C: DBFE1B80 9C00000C
	v_mfma_f32_16x16x16_f16 v[72:75], v[104:105], a[108:109], v[72:75]// 000000008664: D3CD0048 1522D968
	v_exp_f32_e32 v48, v48                                     // 00000000866C: 7E604130
	v_mfma_f32_16x16x16_f16 v[72:75], v[106:107], a[110:111], v[72:75]// 000000008670: D3CD0048 1522DD6A
	v_exp_f32_e32 v49, v49                                     // 000000008678: 7E624131
	v_mfma_f32_16x16x16_f16 v[76:79], v[92:93], a[112:113], 0  // 00000000867C: D3CD004C 1202E15C
	v_exp_f32_e32 v50, v50                                     // 000000008684: 7E644132
	v_mfma_f32_16x16x16_f16 v[76:79], v[94:95], a[114:115], v[76:79]// 000000008688: D3CD004C 1532E55E
	ds_read_b64 v[136:137], v19 offset:24320                   // 000000008690: D8EC5F00 88000013
	ds_read_b64 v[138:139], v19 offset:26368                   // 000000008698: D8EC6700 8A000013
	v_mfma_f32_16x16x16_f16 v[76:79], v[96:97], a[116:117], v[76:79]// 0000000086A0: D3CD004C 1532E960
	v_exp_f32_e32 v51, v51                                     // 0000000086A8: 7E664133
	v_mfma_f32_16x16x16_f16 v[76:79], v[98:99], a[118:119], v[76:79]// 0000000086AC: D3CD004C 1532ED62
	ds_read_b64 v[140:141], v19 offset:28416                   // 0000000086B4: D8EC6F00 8C000013
	ds_read_b64 v[142:143], v19 offset:30464                   // 0000000086BC: D8EC7700 8E000013
	v_mfma_f32_16x16x16_f16 v[76:79], v[100:101], a[120:121], v[76:79]// 0000000086C4: D3CD004C 1532F164
	v_exp_f32_e32 v52, v52                                     // 0000000086CC: 7E684134
	v_mfma_f32_16x16x16_f16 v[76:79], v[102:103], a[122:123], v[76:79]// 0000000086D0: D3CD004C 1532F566
	v_exp_f32_e32 v53, v53                                     // 0000000086D8: 7E6A4135
	v_mfma_f32_16x16x16_f16 v[76:79], v[104:105], a[124:125], v[76:79]// 0000000086DC: D3CD004C 1532F968
	v_exp_f32_e32 v54, v54                                     // 0000000086E4: 7E6C4136
	v_mfma_f32_16x16x16_f16 v[76:79], v[106:107], a[126:127], v[76:79]// 0000000086E8: D3CD004C 1532FD6A
	v_exp_f32_e32 v55, v55                                     // 0000000086F0: 7E6E4137
	v_mfma_f32_16x16x16_f16 v[80:83], v[92:93], a[128:129], 0  // 0000000086F4: D3CD0050 1203015C
	v_exp_f32_e32 v56, v56                                     // 0000000086FC: 7E704138
	v_mfma_f32_16x16x16_f16 v[80:83], v[94:95], a[130:131], v[80:83]// 000000008700: D3CD0050 1543055E
	v_exp_f32_e32 v57, v57                                     // 000000008708: 7E724139
	v_mfma_f32_16x16x16_f16 v[80:83], v[96:97], a[132:133], v[80:83]// 00000000870C: D3CD0050 15430960
	v_exp_f32_e32 v58, v58                                     // 000000008714: 7E74413A
	v_mfma_f32_16x16x16_f16 v[80:83], v[98:99], a[134:135], v[80:83]// 000000008718: D3CD0050 15430D62
	v_exp_f32_e32 v59, v59                                     // 000000008720: 7E76413B
	v_mfma_f32_16x16x16_f16 v[80:83], v[100:101], a[136:137], v[80:83]// 000000008724: D3CD0050 15431164
	v_cvt_pkrtz_f16_f32 v144, v48, v49                         // 00000000872C: D2960090 00026330
	v_cvt_pkrtz_f16_f32 v145, v50, v51                         // 000000008734: D2960091 00026732
	v_cvt_pkrtz_f16_f32 v146, v52, v53                         // 00000000873C: D2960092 00026B34
	v_mfma_f32_16x16x16_f16 v[80:83], v[102:103], a[138:139], v[80:83]// 000000008744: D3CD0050 15431566
	v_cvt_pkrtz_f16_f32 v147, v54, v55                         // 00000000874C: D2960093 00026F36
	v_cvt_pkrtz_f16_f32 v148, v56, v57                         // 000000008754: D2960094 00027338
	v_cvt_pkrtz_f16_f32 v149, v58, v59                         // 00000000875C: D2960095 0002773A
	v_mfma_f32_16x16x16_f16 v[80:83], v[104:105], a[140:141], v[80:83]// 000000008764: D3CD0050 15431968
	v_add_u32_e32 v7, s66, v7                                  // 00000000876C: 680E0E42
	v_add_u32_e32 v8, s66, v8                                  // 000000008770: 68101042
	v_mfma_f32_16x16x16_f16 v[80:83], v[106:107], a[142:143], v[80:83]// 000000008774: D3CD0050 15431D6A
	s_waitcnt lgkmcnt(0)                                       // 00000000877C: BF8CC07F
	s_barrier                                                  // 000000008780: BF8A0000
	v_mfma_f32_16x16x16_f16 v[152:155], v[108:109], v[144:145], v[152:155]// 000000008784: D3CD0098 0663216C
	v_subrev_f32_dpp v72, v150, v72 quad_perm:[0,0,0,0] row_mask:0xf bank_mask:0xf// 00000000878C: 069090FA FF000096
	v_subrev_f32_dpp v73, v150, v73 quad_perm:[1,1,1,1] row_mask:0xf bank_mask:0xf// 000000008794: 069292FA FF005596
	v_subrev_f32_dpp v74, v150, v74 quad_perm:[2,2,2,2] row_mask:0xf bank_mask:0xf// 00000000879C: 069494FA FF00AA96
	v_mfma_f32_16x16x16_f16 v[156:159], v[110:111], v[144:145], v[156:159]// 0000000087A4: D3CD009C 0673216E
	v_subrev_f32_dpp v75, v150, v75 quad_perm:[3,3,3,3] row_mask:0xf bank_mask:0xf// 0000000087AC: 069696FA FF00FF96
	v_subrev_f32_dpp v76, v150, v76 quad_perm:[0,0,0,0] row_mask:0xf bank_mask:0xf// 0000000087B4: 069898FA FF000096
	v_subrev_f32_dpp v77, v150, v77 quad_perm:[1,1,1,1] row_mask:0xf bank_mask:0xf// 0000000087BC: 069A9AFA FF005596
	v_mfma_f32_16x16x16_f16 v[160:163], v[112:113], v[144:145], v[160:163]// 0000000087C4: D3CD00A0 06832170
	v_mul_f32_e32 v72, v48, v72                                // 0000000087CC: 0A909130
	v_mul_f32_e32 v73, v49, v73                                // 0000000087D0: 0A929331
	v_mul_f32_e32 v74, v50, v74                                // 0000000087D4: 0A949532
	v_mfma_f32_16x16x16_f16 v[164:167], v[114:115], v[144:145], v[164:167]// 0000000087D8: D3CD00A4 06932172
	v_mul_f32_e32 v75, v51, v75                                // 0000000087E0: 0A969733
	v_mul_f32_e32 v76, v52, v76                                // 0000000087E4: 0A989934
	v_mul_f32_e32 v77, v53, v77                                // 0000000087E8: 0A9A9B35
	v_mfma_f32_16x16x16_f16 v[168:171], v[116:117], v[144:145], v[168:171]// 0000000087EC: D3CD00A8 06A32174
	v_cvt_pkrtz_f16_f32 v72, v72, v73                          // 0000000087F4: D2960048 00029348
	v_cvt_pkrtz_f16_f32 v73, v74, v75                          // 0000000087FC: D2960049 0002974A
	v_cvt_pkrtz_f16_f32 v74, v76, v77                          // 000000008804: D296004A 00029B4C
	v_mfma_f32_16x16x16_f16 v[172:175], v[118:119], v[144:145], v[172:175]// 00000000880C: D3CD00AC 06B32176
	v_mov_b32_dpp v16, v72 quad_perm:[1,0,3,2] row_mask:0xf bank_mask:0xf// 000000008814: 7E2002FA FF00B148
	v_perm_b32 v48, v16, v72, v15                              // 00000000881C: D1ED0030 043E9110
	v_mov_b32_dpp v16, v73 quad_perm:[1,0,3,2] row_mask:0xf bank_mask:0xf// 000000008824: 7E2002FA FF00B149
	v_mfma_f32_16x16x16_f16 v[176:179], v[120:121], v[144:145], v[176:179]// 00000000882C: D3CD00B0 06C32178
	ds_write_b32 v18, v48 offset:17408                         // 000000008834: D81A4400 00003012
	v_mfma_f32_16x16x16_f16 v[180:183], v[122:123], v[144:145], v[180:183]// 00000000883C: D3CD00B4 06D3217A
	v_perm_b32 v49, v16, v73, v15                              // 000000008844: D1ED0031 043E9310
	v_mov_b32_dpp v16, v74 quad_perm:[1,0,3,2] row_mask:0xf bank_mask:0xf// 00000000884C: 7E2002FA FF00B14A
	v_perm_b32 v50, v16, v74, v15                              // 000000008854: D1ED0032 043E9510
	v_mfma_f32_16x16x16_f16 v[184:187], v[108:109], v[146:147], v[184:187]// 00000000885C: D3CD00B8 06E3256C
	ds_write_b32 v18, v49 offset:17952                         // 000000008864: D81A4620 00003112
	v_mfma_f32_16x16x16_f16 v[188:191], v[110:111], v[146:147], v[188:191]// 00000000886C: D3CD00BC 06F3256E
	v_subrev_f32_dpp v78, v150, v78 quad_perm:[2,2,2,2] row_mask:0xf bank_mask:0xf// 000000008874: 069C9CFA FF00AA96
	v_subrev_f32_dpp v79, v150, v79 quad_perm:[3,3,3,3] row_mask:0xf bank_mask:0xf// 00000000887C: 069E9EFA FF00FF96
	v_subrev_f32_dpp v80, v150, v80 quad_perm:[0,0,0,0] row_mask:0xf bank_mask:0xf// 000000008884: 06A0A0FA FF000096
	v_mfma_f32_16x16x16_f16 v[192:195], v[112:113], v[146:147], v[192:195]// 00000000888C: D3CD00C0 07032570
	ds_write_b32 v18, v50 offset:19712                         // 000000008894: D81A4D00 00003212
	v_mfma_f32_16x16x16_f16 v[196:199], v[114:115], v[146:147], v[196:199]// 00000000889C: D3CD00C4 07132572
	v_subrev_f32_dpp v81, v150, v81 quad_perm:[1,1,1,1] row_mask:0xf bank_mask:0xf// 0000000088A4: 06A2A2FA FF005596
	v_subrev_f32_dpp v82, v150, v82 quad_perm:[2,2,2,2] row_mask:0xf bank_mask:0xf// 0000000088AC: 06A4A4FA FF00AA96
	v_subrev_f32_dpp v83, v150, v83 quad_perm:[3,3,3,3] row_mask:0xf bank_mask:0xf// 0000000088B4: 06A6A6FA FF00FF96
	v_mfma_f32_16x16x16_f16 v[200:203], v[116:117], v[146:147], v[200:203]// 0000000088BC: D3CD00C8 07232574
	v_mul_f32_e32 v78, v54, v78                                // 0000000088C4: 0A9C9D36
	v_mul_f32_e32 v79, v55, v79                                // 0000000088C8: 0A9E9F37
	v_mul_f32_e32 v80, v56, v80                                // 0000000088CC: 0AA0A138
	v_mfma_f32_16x16x16_f16 v[204:207], v[118:119], v[146:147], v[204:207]// 0000000088D0: D3CD00CC 07332576
	v_mul_f32_e32 v81, v57, v81                                // 0000000088D8: 0AA2A339
	v_mul_f32_e32 v82, v58, v82                                // 0000000088DC: 0AA4A53A
	v_mul_f32_e32 v83, v59, v83                                // 0000000088E0: 0AA6A73B
	v_mfma_f32_16x16x16_f16 v[208:211], v[120:121], v[146:147], v[208:211]// 0000000088E4: D3CD00D0 07432578
	v_cvt_pkrtz_f16_f32 v75, v78, v79                          // 0000000088EC: D296004B 00029F4E
	v_cvt_pkrtz_f16_f32 v76, v80, v81                          // 0000000088F4: D296004C 0002A350
	v_cvt_pkrtz_f16_f32 v77, v82, v83                          // 0000000088FC: D296004D 0002A752
	v_mfma_f32_16x16x16_f16 v[212:215], v[122:123], v[146:147], v[212:215]// 000000008904: D3CD00D4 0753257A
	v_mov_b32_dpp v16, v75 quad_perm:[1,0,3,2] row_mask:0xf bank_mask:0xf// 00000000890C: 7E2002FA FF00B14B
	v_perm_b32 v51, v16, v75, v15                              // 000000008914: D1ED0033 043E9710
	v_mov_b32_dpp v16, v76 quad_perm:[1,0,3,2] row_mask:0xf bank_mask:0xf// 00000000891C: 7E2002FA FF00B14C
	v_mfma_f32_16x16x16_f16 v[216:219], v[108:109], v[148:149], v[216:219]// 000000008924: D3CD00D8 0763296C
	ds_write_b32 v18, v51 offset:20256                         // 00000000892C: D81A4F20 00003312
	v_mfma_f32_16x16x16_f16 v[220:223], v[110:111], v[148:149], v[220:223]// 000000008934: D3CD00DC 0773296E
	v_perm_b32 v52, v16, v76, v15                              // 00000000893C: D1ED0034 043E9910
	v_mov_b32_dpp v16, v77 quad_perm:[1,0,3,2] row_mask:0xf bank_mask:0xf// 000000008944: 7E2002FA FF00B14D
	v_perm_b32 v53, v16, v77, v15                              // 00000000894C: D1ED0035 043E9B10
	v_mfma_f32_16x16x16_f16 v[224:227], v[112:113], v[148:149], v[224:227]// 000000008954: D3CD00E0 07832970
	ds_write_b32 v18, v52 offset:22016                         // 00000000895C: D81A5600 00003412
	ds_write_b32 v18, v53 offset:22560                         // 000000008964: D81A5820 00003512
	v_mfma_f32_16x16x16_f16 v[228:231], v[114:115], v[148:149], v[228:231]// 00000000896C: D3CD00E4 07932972
	v_mfma_f32_16x16x16_f16 v[232:235], v[116:117], v[148:149], v[232:235]// 000000008974: D3CD00E8 07A32974
	ds_write_b32 v13, v84 offset:4352                          // 00000000897C: D81A1100 0000540D
	ds_write_b32 v13, v85 offset:5408                          // 000000008984: D81A1520 0000550D
	v_mfma_f32_16x16x16_f16 v[236:239], v[118:119], v[148:149], v[236:239]// 00000000898C: D3CD00EC 07B32976
	v_mfma_f32_16x16x16_f16 v[240:243], v[120:121], v[148:149], v[240:243]// 000000008994: D3CD00F0 07C32978
	ds_write_b32 v13, v86 offset:4480                          // 00000000899C: D81A1180 0000560D
	ds_write_b32 v13, v87 offset:5536                          // 0000000089A4: D81A15A0 0000570D
	v_mfma_f32_16x16x16_f16 v[244:247], v[122:123], v[148:149], v[244:247]// 0000000089AC: D3CD00F4 07D3297A
	s_nop 0                                                    // 0000000089B4: BF800000
	s_nop 0                                                    // 0000000089B8: BF800000
	s_nop 0                                                    // 0000000089BC: BF800000
	s_barrier                                                  // 0000000089C0: BF8A0000
	v_mfma_f32_16x16x16_f16 a[160:163], a[144:145], v[72:73], a[160:163]// 0000000089C4: D3CD80A0 0E829190
	ds_read_b32 v124, v21 offset:51200                         // 0000000089CC: D86CC800 7C000015
	ds_read_b32 v150, v21 offset:51456                         // 0000000089D4: D86CC900 96000015
	v_mfma_f32_16x16x16_f16 a[164:167], a[146:147], v[72:73], a[164:167]// 0000000089DC: D3CD80A4 0E929192
	buffer_atomic_add_f32 v136, v7, s[32:35], 0 offen          // 0000000089E4: E1341000 80088807
	v_mfma_f32_16x16x16_f16 a[168:171], a[148:149], v[72:73], a[168:171]// 0000000089EC: D3CD80A8 0EA29194
	s_waitcnt lgkmcnt(6)                                       // 0000000089F4: BF8CC67F
	s_barrier                                                  // 0000000089F8: BF8A0000
	v_mfma_f32_16x16x16_f16 a[172:175], a[150:151], v[72:73], a[172:175]// 0000000089FC: D3CD80AC 0EB29196
	v_mfma_f32_16x16x16_f16 a[176:179], a[152:153], v[72:73], a[176:179]// 000000008A04: D3CD80B0 0EC29198
	ds_read_b128 v[48:51], v17 offset:17408                    // 000000008A0C: D9FE4400 30000011
	v_mfma_f32_16x16x16_f16 a[180:183], a[154:155], v[72:73], a[180:183]// 000000008A14: D3CD80B4 0ED2919A
	v_mfma_f32_16x16x16_f16 a[184:187], a[156:157], v[72:73], a[184:187]// 000000008A1C: D3CD80B8 0EE2919C
	ds_read_b128 v[52:55], v17 offset:18560                    // 000000008A24: D9FE4880 34000011
	v_mfma_f32_16x16x16_f16 a[188:191], a[158:159], v[72:73], a[188:191]// 000000008A2C: D3CD80BC 0EF2919E
	buffer_atomic_add_f32 v137, v8, s[32:35], 0 offen          // 000000008A34: E1341000 80088908
	v_mfma_f32_16x16x16_f16 a[192:195], a[144:145], v[74:75], a[192:195]// 000000008A3C: D3CD80C0 0F029590
	ds_read_b128 v[56:59], v17 offset:19712                    // 000000008A44: D9FE4D00 38000011
	v_mfma_f32_16x16x16_f16 a[196:199], a[146:147], v[74:75], a[196:199]// 000000008A4C: D3CD80C4 0F129592
	v_mfma_f32_16x16x16_f16 a[200:203], a[148:149], v[74:75], a[200:203]// 000000008A54: D3CD80C8 0F229594
	ds_read_b128 v[60:63], v17 offset:20864                    // 000000008A5C: D9FE5180 3C000011
	v_mfma_f32_16x16x16_f16 a[204:207], a[150:151], v[74:75], a[204:207]// 000000008A64: D3CD80CC 0F329596
	v_mfma_f32_16x16x16_f16 a[208:211], a[152:153], v[74:75], a[208:211]// 000000008A6C: D3CD80D0 0F429598
	ds_read_b128 v[64:67], v17 offset:22016                    // 000000008A74: D9FE5600 40000011
	v_mfma_f32_16x16x16_f16 a[212:215], a[154:155], v[74:75], a[212:215]// 000000008A7C: D3CD80D4 0F52959A
	buffer_atomic_add_f32 v138, v7, s[32:35], 0 offen offset:128// 000000008A84: E1341080 80088A07
	v_mfma_f32_16x16x16_f16 a[216:219], a[156:157], v[74:75], a[216:219]// 000000008A8C: D3CD80D8 0F62959C
	ds_read_b128 v[68:71], v17 offset:23168                    // 000000008A94: D9FE5A80 44000011
	v_mfma_f32_16x16x16_f16 a[220:223], a[158:159], v[74:75], a[220:223]// 000000008A9C: D3CD80DC 0F72959E
	v_mfma_f32_16x16x16_f16 a[224:227], a[144:145], v[76:77], a[224:227]// 000000008AA4: D3CD80E0 0F829990
	ds_write_b32 v13, v88 offset:13056                         // 000000008AAC: D81A3300 0000580D
	v_mfma_f32_16x16x16_f16 a[228:231], a[146:147], v[76:77], a[228:231]// 000000008AB4: D3CD80E4 0F929992
	v_mfma_f32_16x16x16_f16 a[232:235], a[148:149], v[76:77], a[232:235]// 000000008ABC: D3CD80E8 0FA29994
	ds_write_b32 v13, v89 offset:14112                         // 000000008AC4: D81A3720 0000590D
	v_mfma_f32_16x16x16_f16 a[236:239], a[150:151], v[76:77], a[236:239]// 000000008ACC: D3CD80EC 0FB29996
	buffer_atomic_add_f32 v139, v8, s[32:35], 0 offen offset:128// 000000008AD4: E1341080 80088B08
	v_mfma_f32_16x16x16_f16 a[240:243], a[152:153], v[76:77], a[240:243]// 000000008ADC: D3CD80F0 0FC29998
	ds_write_b32 v13, v90 offset:13184                         // 000000008AE4: D81A3380 00005A0D
	v_mfma_f32_16x16x16_f16 a[244:247], a[154:155], v[76:77], a[244:247]// 000000008AEC: D3CD80F4 0FD2999A
	v_mfma_f32_16x16x16_f16 a[248:251], a[156:157], v[76:77], a[248:251]// 000000008AF4: D3CD80F8 0FE2999C
	ds_write_b32 v13, v91 offset:14240                         // 000000008AFC: D81A37A0 00005B0D
	v_mfma_f32_16x16x16_f16 a[252:255], a[158:159], v[76:77], a[252:255]// 000000008B04: D3CD80FC 0FF2999E
	s_waitcnt vmcnt(8) lgkmcnt(4)                              // 000000008B0C: BF8C0478
	s_barrier                                                  // 000000008B10: BF8A0000
	v_mfma_f32_16x16x16_f16 v[128:131], v[48:49], a[48:49], 0  // 000000008B14: D3CD0080 12026130
	ds_read_b128 a[144:147], v10                               // 000000008B1C: DBFE0000 9000000A
	v_mov_b32_e32 v36, 0                                       // 000000008B24: 7E480280
	s_mov_b64 exec, s[80:81]                                   // 000000008B28: BEFE0150
	buffer_load_dword v36, v1, s[8:11], 0 idxen                // 000000008B2C: E0502000 80022401
	s_mov_b32 exec_lo, -1                                      // 000000008B34: BEFE00C1
	s_mov_b32 exec_hi, -1                                      // 000000008B38: BEFF00C1
	v_mfma_f32_16x16x16_f16 v[128:131], v[50:51], a[52:53], v[128:131]// 000000008B3C: D3CD0080 16026932
	v_mul_f32_e32 v124, s48, v124                              // 000000008B44: 0AF8F830
	s_nop 0                                                    // 000000008B48: BF800000
	v_mfma_f32_16x16x16_f16 v[128:131], v[52:53], a[56:57], v[128:131]// 000000008B4C: D3CD0080 16027134
	ds_read_b128 a[148:151], v10 offset:512                    // 000000008B54: DBFE0200 9400000A
	v_mov_b32_e32 v37, 0                                       // 000000008B5C: 7E4A0280
	s_mov_b64 exec, s[80:81]                                   // 000000008B60: BEFE0150
	buffer_load_dword v37, v2, s[8:11], 0 idxen                // 000000008B64: E0502000 80022502
	s_mov_b32 exec_lo, -1                                      // 000000008B6C: BEFE00C1
	s_mov_b32 exec_hi, -1                                      // 000000008B70: BEFF00C1
	v_mfma_f32_16x16x16_f16 v[128:131], v[54:55], a[60:61], v[128:131]// 000000008B74: D3CD0080 16027936
	v_mfma_f32_16x16x16_f16 v[128:131], v[56:57], a[64:65], v[128:131]// 000000008B7C: D3CD0080 16028138
	ds_read_b128 a[152:155], v10 offset:2176                   // 000000008B84: DBFE0880 9800000A
	v_mov_b32_e32 v38, 0                                       // 000000008B8C: 7E4C0280
	s_mov_b64 exec, s[80:81]                                   // 000000008B90: BEFE0150
	buffer_load_dword v38, v3, s[8:11], 0 idxen                // 000000008B94: E0502000 80022603
	s_mov_b32 exec_lo, -1                                      // 000000008B9C: BEFE00C1
	s_mov_b32 exec_hi, -1                                      // 000000008BA0: BEFF00C1
	v_mfma_f32_16x16x16_f16 v[128:131], v[58:59], a[68:69], v[128:131]// 000000008BA4: D3CD0080 1602893A
	v_perm_b32 v84, v33, v32, s63                              // 000000008BAC: D1ED0054 00FE4121
	v_perm_b32 v85, v33, v32, s64                              // 000000008BB4: D1ED0055 01024121
	v_mfma_f32_16x16x16_f16 v[128:131], v[60:61], a[72:73], v[128:131]// 000000008BBC: D3CD0080 1602913C
	ds_read_b128 a[156:159], v10 offset:2688                   // 000000008BC4: DBFE0A80 9C00000A
	v_mov_b32_e32 v39, 0                                       // 000000008BCC: 7E4E0280
	s_mov_b64 exec, s[80:81]                                   // 000000008BD0: BEFE0150
	buffer_load_dword v39, v4, s[8:11], 0 idxen                // 000000008BD4: E0502000 80022704
	s_mov_b32 exec_lo, -1                                      // 000000008BDC: BEFE00C1
	s_mov_b32 exec_hi, -1                                      // 000000008BE0: BEFF00C1
	v_mfma_f32_16x16x16_f16 v[128:131], v[62:63], a[76:77], v[128:131]// 000000008BE4: D3CD0080 1602993E
	v_perm_b32 v86, v35, v34, s63                              // 000000008BEC: D1ED0056 00FE4523
	v_perm_b32 v87, v35, v34, s64                              // 000000008BF4: D1ED0057 01024523
	v_mfma_f32_16x16x16_f16 v[128:131], v[64:65], a[80:81], v[128:131]// 000000008BFC: D3CD0080 1602A140
	ds_read_b128 v[92:95], v10 offset:8704                     // 000000008C04: D9FE2200 5C00000A
	v_mov_b32_e32 v44, 0                                       // 000000008C0C: 7E580280
	s_mov_b64 exec, s[80:81]                                   // 000000008C10: BEFE0150
	buffer_load_dword v44, v248, s[20:23], 0 idxen             // 000000008C14: E0502000 80052CF8
	s_mov_b32 exec_lo, -1                                      // 000000008C1C: BEFE00C1
	s_mov_b32 exec_hi, -1                                      // 000000008C20: BEFF00C1
	v_mfma_f32_16x16x16_f16 v[128:131], v[66:67], a[84:85], v[128:131]// 000000008C24: D3CD0080 1602A942
	v_perm_b32 v88, v41, v40, s63                              // 000000008C2C: D1ED0058 00FE5129
	v_perm_b32 v89, v41, v40, s64                              // 000000008C34: D1ED0059 01025129
	v_mfma_f32_16x16x16_f16 v[128:131], v[68:69], a[88:89], v[128:131]// 000000008C3C: D3CD0080 1602B144
	ds_read_b128 v[96:99], v10 offset:9216                     // 000000008C44: D9FE2400 6000000A
	v_mov_b32_e32 v45, 0                                       // 000000008C4C: 7E5A0280
	s_mov_b64 exec, s[80:81]                                   // 000000008C50: BEFE0150
	buffer_load_dword v45, v249, s[20:23], 0 idxen             // 000000008C54: E0502000 80052DF9
	s_mov_b32 exec_lo, -1                                      // 000000008C5C: BEFE00C1
	s_mov_b32 exec_hi, -1                                      // 000000008C60: BEFF00C1
	v_mfma_f32_16x16x16_f16 v[128:131], v[70:71], a[92:93], v[128:131]// 000000008C64: D3CD0080 1602B946
	v_perm_b32 v90, v43, v42, s63                              // 000000008C6C: D1ED005A 00FE552B
	v_perm_b32 v91, v43, v42, s64                              // 000000008C74: D1ED005B 0102552B
	v_mfma_f32_16x16x16_f16 v[132:135], v[48:49], a[50:51], 0  // 000000008C7C: D3CD0084 12026530
	ds_read_b128 v[100:103], v10 offset:10880                  // 000000008C84: D9FE2A80 6400000A
	v_mov_b32_e32 v46, 0                                       // 000000008C8C: 7E5C0280
	s_mov_b64 exec, s[80:81]                                   // 000000008C90: BEFE0150
	buffer_load_dword v46, v250, s[20:23], 0 idxen             // 000000008C94: E0502000 80052EFA
	s_mov_b32 exec_lo, -1                                      // 000000008C9C: BEFE00C1
	s_mov_b32 exec_hi, -1                                      // 000000008CA0: BEFF00C1
	v_mfma_f32_16x16x16_f16 v[132:135], v[50:51], a[54:55], v[132:135]// 000000008CA4: D3CD0084 16126D32
	v_mov_b32_dpp v127, v124 quad_perm:[3,3,3,3] row_mask:0xf bank_mask:0xf// 000000008CAC: 7EFE02FA FF00FF7C
	v_mov_b32_dpp v126, v124 quad_perm:[2,2,2,2] row_mask:0xf bank_mask:0xf// 000000008CB4: 7EFC02FA FF00AA7C
	v_mfma_f32_16x16x16_f16 v[132:135], v[52:53], a[58:59], v[132:135]// 000000008CBC: D3CD0084 16127534
	ds_read_b128 v[104:107], v10 offset:11392                  // 000000008CC4: D9FE2C80 6800000A
	v_mov_b32_e32 v47, 0                                       // 000000008CCC: 7E5E0280
	s_mov_b64 exec, s[80:81]                                   // 000000008CD0: BEFE0150
	buffer_load_dword v47, v251, s[20:23], 0 idxen             // 000000008CD4: E0502000 80052FFB
	s_mov_b32 exec_lo, -1                                      // 000000008CDC: BEFE00C1
	s_mov_b32 exec_hi, -1                                      // 000000008CE0: BEFF00C1
	v_mfma_f32_16x16x16_f16 v[132:135], v[54:55], a[62:63], v[132:135]// 000000008CE4: D3CD0084 16127D36
	v_mov_b32_dpp v125, v124 quad_perm:[1,1,1,1] row_mask:0xf bank_mask:0xf// 000000008CEC: 7EFA02FA FF00557C
	v_mov_b32_dpp v124, v124 quad_perm:[0,0,0,0] row_mask:0xf bank_mask:0xf// 000000008CF4: 7EF802FA FF00007C
	s_add_u32 s60, 64, s59                                     // 000000008CFC: 803C3BC0
	v_mfma_f32_16x16x16_f16 v[132:135], v[56:57], a[66:67], v[132:135]// 000000008D00: D3CD0084 16128538
	buffer_load_dword v9, s[24:27], 0 idxen lds                // 000000008D08: E0512000 80060009
	v_mfma_f32_16x16x16_f16 v[132:135], v[58:59], a[70:71], v[132:135]// 000000008D10: D3CD0084 16128D3A
	s_cmp_lt_u32 s60, s58                                      // 000000008D18: BF0A3A3C
	s_cselect_b32 s68, s68, 0                                  // 000000008D1C: 85448044
	s_cselect_b32 s100, s100, 0                                // 000000008D20: 85648064
	s_cselect_b32 s69, s69, 0                                  // 000000008D24: 85458045
	v_mfma_f32_16x16x16_f16 v[132:135], v[60:61], a[74:75], v[132:135]// 000000008D28: D3CD0084 1612953C
	v_add_u32_e32 v1, s68, v1                                  // 000000008D30: 68020244
	v_add_u32_e32 v2, s68, v2                                  // 000000008D34: 68040444
	v_add_u32_e32 v3, s68, v3                                  // 000000008D38: 68060644
	v_add_u32_e32 v4, s68, v4                                  // 000000008D3C: 68080844
	v_mfma_f32_16x16x16_f16 v[132:135], v[62:63], a[78:79], v[132:135]// 000000008D40: D3CD0084 16129D3E
	v_add_u32_e32 v248, s100, v248                             // 000000008D48: 69F1F064
	v_add_u32_e32 v249, s100, v249                             // 000000008D4C: 69F3F264
	v_add_u32_e32 v250, s100, v250                             // 000000008D50: 69F5F464
	v_add_u32_e32 v251, s100, v251                             // 000000008D54: 69F7F664
	v_mfma_f32_16x16x16_f16 v[132:135], v[64:65], a[82:83], v[132:135]// 000000008D58: D3CD0084 1612A540
	s_mov_b32 m0, s78                                          // 000000008D60: BEFC004E
	v_add_u32_e32 v9, s69, v9                                  // 000000008D64: 68121245
	v_mfma_f32_16x16x16_f16 v[132:135], v[66:67], a[86:87], v[132:135]// 000000008D68: D3CD0084 1612AD42
	s_cmp_ge_u32 s59, s73                                      // 000000008D70: BF09493B
	s_cselect_b32 s66, s67, s66                                // 000000008D74: 85424243
	v_mfma_f32_16x16x16_f16 v[132:135], v[68:69], a[90:91], v[132:135]// 000000008D78: D3CD0084 1612B544
	s_addk_i32 s59, 0x10                                       // 000000008D80: B73B0010
	s_nop 0                                                    // 000000008D84: BF800000
	s_cmp_lt_i32 s59, s58                                      // 000000008D88: BF043A3B
	v_mfma_f32_16x16x16_f16 v[132:135], v[70:71], a[94:95], v[132:135]// 000000008D8C: D3CD0084 1612BD46
	s_cbranch_scc0 label_10C4                                  // 000000008D94: BF84FCD4
	s_waitcnt lgkmcnt(0)                                       // 000000008D98: BF8CC07F
	s_barrier                                                  // 000000008D9C: BF8A0000
	v_mfma_f32_16x16x16_f16 v[48:51], a[144:145], a[0:1], 0    // 000000008DA0: D3CD0030 1A020190
	v_mul_f32_e32 v128, s47, v128                              // 000000008DA8: 0B01002F
	v_mul_f32_e32 v129, s47, v129                              // 000000008DAC: 0B03022F
	v_mfma_f32_16x16x16_f16 v[48:51], a[146:147], a[2:3], v[48:51]// 000000008DB0: D3CD0030 1CC20592
	ds_write_b32 v11, v40 offset:8704                          // 000000008DB8: D81A2200 0000280B
	ds_write_b32 v11, v41 offset:9760                          // 000000008DC0: D81A2620 0000290B
	v_mfma_f32_16x16x16_f16 v[48:51], a[148:149], a[4:5], v[48:51]// 000000008DC8: D3CD0030 1CC20994
	v_mul_f32_e32 v130, s47, v130                              // 000000008DD0: 0B05042F
	v_mul_f32_e32 v131, s47, v131                              // 000000008DD4: 0B07062F
	v_mfma_f32_16x16x16_f16 v[48:51], a[150:151], a[6:7], v[48:51]// 000000008DD8: D3CD0030 1CC20D96
	ds_write_b32 v11, v42 offset:8832                          // 000000008DE0: D81A2280 00002A0B
	ds_write_b32 v11, v43 offset:9888                          // 000000008DE8: D81A26A0 00002B0B
	v_mfma_f32_16x16x16_f16 v[48:51], a[152:153], a[8:9], v[48:51]// 000000008DF0: D3CD0030 1CC21198
	v_mul_f32_e32 v132, s47, v132                              // 000000008DF8: 0B09082F
	v_mul_f32_e32 v133, s47, v133                              // 000000008DFC: 0B0B0A2F
	v_mfma_f32_16x16x16_f16 v[48:51], a[154:155], a[10:11], v[48:51]// 000000008E00: D3CD0030 1CC2159A
	ds_write_b64 v20, v[128:129] offset:24320                  // 000000008E08: D89A5F00 00008014
	v_mfma_f32_16x16x16_f16 v[48:51], a[156:157], a[12:13], v[48:51]// 000000008E10: D3CD0030 1CC2199C
	v_mul_f32_e32 v134, s47, v134                              // 000000008E18: 0B0D0C2F
	v_mul_f32_e32 v135, s47, v135                              // 000000008E1C: 0B0F0E2F
	v_mfma_f32_16x16x16_f16 v[48:51], a[158:159], a[14:15], v[48:51]// 000000008E20: D3CD0030 1CC21D9E
	ds_write_b64 v20, v[130:131] offset:24832                  // 000000008E28: D89A6100 00008214
	v_mfma_f32_16x16x16_f16 v[52:55], a[144:145], a[16:17], 0  // 000000008E30: D3CD0034 1A022190
	buffer_atomic_add_f32 v140, v7, s[32:35], 0 offen offset:256// 000000008E38: E1341100 80088C07
	v_mfma_f32_16x16x16_f16 v[52:55], a[146:147], a[18:19], v[52:55]// 000000008E40: D3CD0034 1CD22592
	ds_write_b64 v20, v[132:133] offset:25344                  // 000000008E48: D89A6300 00008414
	v_mfma_f32_16x16x16_f16 v[52:55], a[148:149], a[20:21], v[52:55]// 000000008E50: D3CD0034 1CD22994
	v_mfma_f32_16x16x16_f16 v[52:55], a[150:151], a[22:23], v[52:55]// 000000008E58: D3CD0034 1CD22D96
	ds_write_b64 v20, v[134:135] offset:25856                  // 000000008E60: D89A6500 00008614
	v_mfma_f32_16x16x16_f16 v[52:55], a[152:153], a[24:25], v[52:55]// 000000008E68: D3CD0034 1CD23198
	buffer_atomic_add_f32 v141, v8, s[32:35], 0 offen offset:256// 000000008E70: E1341100 80088D08
	v_mfma_f32_16x16x16_f16 v[52:55], a[154:155], a[26:27], v[52:55]// 000000008E78: D3CD0034 1CD2359A
	ds_read_b128 v[108:111], v12 offset:13056                  // 000000008E80: D9FE3300 6C00000C
	ds_write_b32 v11, v32                                      // 000000008E88: D81A0000 0000200B
	v_mfma_f32_16x16x16_f16 v[52:55], a[156:157], a[28:29], v[52:55]// 000000008E90: D3CD0034 1CD2399C
	v_mfma_f32_16x16x16_f16 v[52:55], a[158:159], a[30:31], v[52:55]// 000000008E98: D3CD0034 1CD23D9E
	v_mfma_f32_16x16x16_f16 v[56:59], a[144:145], a[32:33], 0  // 000000008EA0: D3CD0038 1A024190
	ds_read_b128 v[112:115], v12 offset:13568                  // 000000008EA8: D9FE3500 7000000C
	ds_write_b32 v11, v33 offset:1056                          // 000000008EB0: D81A0420 0000210B
	v_mfma_f32_16x16x16_f16 v[56:59], a[146:147], a[34:35], v[56:59]// 000000008EB8: D3CD0038 1CE24592
	buffer_atomic_add_f32 v142, v7, s[32:35], 0 offen offset:384// 000000008EC0: E1341180 80088E07
	v_mfma_f32_16x16x16_f16 v[56:59], a[148:149], a[36:37], v[56:59]// 000000008EC8: D3CD0038 1CE24994
	v_mfma_f32_16x16x16_f16 v[56:59], a[150:151], a[38:39], v[56:59]// 000000008ED0: D3CD0038 1CE24D96
	ds_read_b128 v[116:119], v12 offset:15232                  // 000000008ED8: D9FE3B80 7400000C
	ds_write_b32 v11, v34 offset:128                           // 000000008EE0: D81A0080 0000220B
	v_mfma_f32_16x16x16_f16 v[56:59], a[152:153], a[40:41], v[56:59]// 000000008EE8: D3CD0038 1CE25198
	v_mfma_f32_16x16x16_f16 v[56:59], a[154:155], a[42:43], v[56:59]// 000000008EF0: D3CD0038 1CE2559A
	buffer_atomic_add_f32 v143, v8, s[32:35], 0 offen offset:384// 000000008EF8: E1341180 80088F08
	v_mfma_f32_16x16x16_f16 v[56:59], a[156:157], a[44:45], v[56:59]// 000000008F00: D3CD0038 1CE2599C
	ds_read_b128 v[120:123], v12 offset:15744                  // 000000008F08: D9FE3D80 7800000C
	ds_write_b32 v11, v35 offset:1184                          // 000000008F10: D81A04A0 0000230B
	v_mfma_f32_16x16x16_f16 v[56:59], a[158:159], a[46:47], v[56:59]// 000000008F18: D3CD0038 1CE25D9E
	s_cmp_lt_i32 s74, 12                                       // 000000008F20: BF048C4A
	s_cbranch_scc0 label_14CE                                  // 000000008F24: BF840075
	s_mov_b32 s60, 0xffe0fffe                                  // 000000008F28: BEBC00FF FFE0FFFE
	s_mov_b32 s61, 0xe000fe00                                  // 000000008F30: BEBD00FF E000FE00
	s_nop 0                                                    // 000000008F38: BF800000
	s_add_u32 s62, 0, s46                                      // 000000008F3C: 803E2E80
	s_cmp_lt_i32 s74, s62                                      // 000000008F40: BF043E4A
	s_cbranch_scc1 label_1489                                  // 000000008F44: BF850028
	s_cmp_eq_i32 s74, s62                                      // 000000008F48: BF003E4A
	s_cbranch_scc1 label_146E                                  // 000000008F4C: BF85000B
	s_add_u32 s62, 4, s46                                      // 000000008F50: 803E2E84
	s_cmp_lt_i32 s74, s62                                      // 000000008F54: BF043E4A
	s_cbranch_scc1 label_14A9                                  // 000000008F58: BF850043
	s_cmp_eq_i32 s74, s62                                      // 000000008F5C: BF003E4A
	s_cbranch_scc1 label_148E                                  // 000000008F60: BF850026
	s_add_u32 s62, 8, s46                                      // 000000008F64: 803E2E88
	s_cmp_lt_i32 s74, s62                                      // 000000008F68: BF043E4A
	s_cbranch_scc1 label_14C9                                  // 000000008F6C: BF85005E
	s_cmp_eq_i32 s74, s62                                      // 000000008F70: BF003E4A
	s_cbranch_scc1 label_14AE                                  // 000000008F74: BF850041
	s_branch label_14CE                                        // 000000008F78: BF820060

0000000000008f7c <label_146E>:
	v_cndmask_b32_e64 v48, v48, v151, s[60:61]                 // 000000008F7C: D1000030 00F32F30
	s_lshl_b32 s60, s60, 1                                     // 000000008F84: 8E3C813C
	s_lshl_b32 s61, s61, 1                                     // 000000008F88: 8E3D813D
	s_and_b32 s60, 0xfffeffff, s60                             // 000000008F8C: 863C3CFF FFFEFFFF
	s_and_b32 s61, 0xfffeffff, s61                             // 000000008F94: 863D3DFF FFFEFFFF
	v_cndmask_b32_e64 v49, v49, v151, s[60:61]                 // 000000008F9C: D1000031 00F32F31
	s_lshl_b32 s60, s60, 1                                     // 000000008FA4: 8E3C813C
	s_lshl_b32 s61, s61, 1                                     // 000000008FA8: 8E3D813D
	s_and_b32 s60, 0xfffeffff, s60                             // 000000008FAC: 863C3CFF FFFEFFFF
	s_and_b32 s61, 0xfffeffff, s61                             // 000000008FB4: 863D3DFF FFFEFFFF
	v_cndmask_b32_e64 v50, v50, v151, s[60:61]                 // 000000008FBC: D1000032 00F32F32
	s_lshl_b32 s60, s60, 1                                     // 000000008FC4: 8E3C813C
	s_lshl_b32 s61, s61, 1                                     // 000000008FC8: 8E3D813D
	s_and_b32 s60, 0xfffeffff, s60                             // 000000008FCC: 863C3CFF FFFEFFFF
	s_and_b32 s61, 0xfffeffff, s61                             // 000000008FD4: 863D3DFF FFFEFFFF
	v_cndmask_b32_e64 v51, v51, v151, s[60:61]                 // 000000008FDC: D1000033 00F32F33
	s_branch label_14A9                                        // 000000008FE4: BF820020

0000000000008fe8 <label_1489>:
	v_mov_b32_e32 v48, v151                                    // 000000008FE8: 7E600397
	v_mov_b32_e32 v49, v151                                    // 000000008FEC: 7E620397
	v_mov_b32_e32 v50, v151                                    // 000000008FF0: 7E640397
	v_mov_b32_e32 v51, v151                                    // 000000008FF4: 7E660397
	s_branch label_14A9                                        // 000000008FF8: BF82001B

0000000000008ffc <label_148E>:
	v_cndmask_b32_e64 v52, v52, v151, s[60:61]                 // 000000008FFC: D1000034 00F32F34
	s_lshl_b32 s60, s60, 1                                     // 000000009004: 8E3C813C
	s_lshl_b32 s61, s61, 1                                     // 000000009008: 8E3D813D
	s_and_b32 s60, 0xfffeffff, s60                             // 00000000900C: 863C3CFF FFFEFFFF
	s_and_b32 s61, 0xfffeffff, s61                             // 000000009014: 863D3DFF FFFEFFFF
	v_cndmask_b32_e64 v53, v53, v151, s[60:61]                 // 00000000901C: D1000035 00F32F35
	s_lshl_b32 s60, s60, 1                                     // 000000009024: 8E3C813C
	s_lshl_b32 s61, s61, 1                                     // 000000009028: 8E3D813D
	s_and_b32 s60, 0xfffeffff, s60                             // 00000000902C: 863C3CFF FFFEFFFF
	s_and_b32 s61, 0xfffeffff, s61                             // 000000009034: 863D3DFF FFFEFFFF
	v_cndmask_b32_e64 v54, v54, v151, s[60:61]                 // 00000000903C: D1000036 00F32F36
	s_lshl_b32 s60, s60, 1                                     // 000000009044: 8E3C813C
	s_lshl_b32 s61, s61, 1                                     // 000000009048: 8E3D813D
	s_and_b32 s60, 0xfffeffff, s60                             // 00000000904C: 863C3CFF FFFEFFFF
	s_and_b32 s61, 0xfffeffff, s61                             // 000000009054: 863D3DFF FFFEFFFF
	v_cndmask_b32_e64 v55, v55, v151, s[60:61]                 // 00000000905C: D1000037 00F32F37
	s_branch label_14C9                                        // 000000009064: BF820020

0000000000009068 <label_14A9>:
	v_mov_b32_e32 v52, v151                                    // 000000009068: 7E680397
	v_mov_b32_e32 v53, v151                                    // 00000000906C: 7E6A0397
	v_mov_b32_e32 v54, v151                                    // 000000009070: 7E6C0397
	v_mov_b32_e32 v55, v151                                    // 000000009074: 7E6E0397
	s_branch label_14C9                                        // 000000009078: BF82001B

000000000000907c <label_14AE>:
	v_cndmask_b32_e64 v56, v56, v151, s[60:61]                 // 00000000907C: D1000038 00F32F38
	s_lshl_b32 s60, s60, 1                                     // 000000009084: 8E3C813C
	s_lshl_b32 s61, s61, 1                                     // 000000009088: 8E3D813D
	s_and_b32 s60, 0xfffeffff, s60                             // 00000000908C: 863C3CFF FFFEFFFF
	s_and_b32 s61, 0xfffeffff, s61                             // 000000009094: 863D3DFF FFFEFFFF
	v_cndmask_b32_e64 v57, v57, v151, s[60:61]                 // 00000000909C: D1000039 00F32F39
	s_lshl_b32 s60, s60, 1                                     // 0000000090A4: 8E3C813C
	s_lshl_b32 s61, s61, 1                                     // 0000000090A8: 8E3D813D
	s_and_b32 s60, 0xfffeffff, s60                             // 0000000090AC: 863C3CFF FFFEFFFF
	s_and_b32 s61, 0xfffeffff, s61                             // 0000000090B4: 863D3DFF FFFEFFFF
	v_cndmask_b32_e64 v58, v58, v151, s[60:61]                 // 0000000090BC: D100003A 00F32F3A
	s_lshl_b32 s60, s60, 1                                     // 0000000090C4: 8E3C813C
	s_lshl_b32 s61, s61, 1                                     // 0000000090C8: 8E3D813D
	s_and_b32 s60, 0xfffeffff, s60                             // 0000000090CC: 863C3CFF FFFEFFFF
	s_and_b32 s61, 0xfffeffff, s61                             // 0000000090D4: 863D3DFF FFFEFFFF
	v_cndmask_b32_e64 v59, v59, v151, s[60:61]                 // 0000000090DC: D100003B 00F32F3B
	s_branch label_14CE                                        // 0000000090E4: BF820005

00000000000090e8 <label_14C9>:
	v_mov_b32_e32 v56, v151                                    // 0000000090E8: 7E700397
	v_mov_b32_e32 v57, v151                                    // 0000000090EC: 7E720397
	v_mov_b32_e32 v58, v151                                    // 0000000090F0: 7E740397
	v_mov_b32_e32 v59, v151                                    // 0000000090F4: 7E760397
	s_branch label_14CE                                        // 0000000090F8: BF820000

00000000000090fc <label_14CE>:
	s_cmp_lt_i32 s84, 0xc0                                     // 0000000090FC: BF04FF54 000000C0
	s_cbranch_scc0 label_1523                                  // 000000009104: BF84004D
	s_cmp_le_i32 s84, 64                                       // 000000009108: BF05C054
	s_cbranch_scc1 label_14DA                                  // 00000000910C: BF850007
	s_cmp_le_i32 s84, 0x80                                     // 000000009110: BF05FF54 00000080
	s_cbranch_scc1 label_14F2                                  // 000000009118: BF850017
	s_cmp_lt_i32 s84, 0xc0                                     // 00000000911C: BF04FF54 000000C0
	s_cbranch_scc1 label_150A                                  // 000000009124: BF85002C
	s_branch label_1523                                        // 000000009128: BF820044

000000000000912c <label_14DA>:
	s_mov_b32 s60, 0                                           // 00000000912C: BEBC0080
	v_and_b32_e32 v28, 15, v0                                  // 000000009130: 2638008F
	v_add_u32_e64 v28, v28, s60                                // 000000009134: D134001C 0000791C
	v_mul_i32_i24_e64 v29, s46, 16                             // 00000000913C: D106001D 0001202E
	v_add_u32_e32 v28, v28, v29                                // 000000009144: 68383B1C
	v_cmp_lt_u32_e64 s[60:61], v28, s84                        // 000000009148: D0C9003C 0000A91C
	s_nop 1                                                    // 000000009150: BF800001
	v_cndmask_b32_e64 v48, v151, v48, s[60:61]                 // 000000009154: D1000030 00F26197
	v_cndmask_b32_e64 v49, v151, v49, s[60:61]                 // 00000000915C: D1000031 00F26397
	v_cndmask_b32_e64 v50, v151, v50, s[60:61]                 // 000000009164: D1000032 00F26597
	v_cndmask_b32_e64 v51, v151, v51, s[60:61]                 // 00000000916C: D1000033 00F26797
	s_branch label_1505                                        // 000000009174: BF820013

0000000000009178 <label_14F2>:
	s_mov_b32 s60, 64                                          // 000000009178: BEBC00C0
	v_and_b32_e32 v28, 15, v0                                  // 00000000917C: 2638008F
	v_add_u32_e64 v28, v28, s60                                // 000000009180: D134001C 0000791C
	v_mul_i32_i24_e64 v29, s46, 16                             // 000000009188: D106001D 0001202E
	v_add_u32_e32 v28, v28, v29                                // 000000009190: 68383B1C
	v_cmp_lt_u32_e64 s[60:61], v28, s84                        // 000000009194: D0C9003C 0000A91C
	s_nop 1                                                    // 00000000919C: BF800001
	v_cndmask_b32_e64 v52, v151, v52, s[60:61]                 // 0000000091A0: D1000034 00F26997
	v_cndmask_b32_e64 v53, v151, v53, s[60:61]                 // 0000000091A8: D1000035 00F26B97
	v_cndmask_b32_e64 v54, v151, v54, s[60:61]                 // 0000000091B0: D1000036 00F26D97
	v_cndmask_b32_e64 v55, v151, v55, s[60:61]                 // 0000000091B8: D1000037 00F26F97
	s_branch label_151E                                        // 0000000091C0: BF820019

00000000000091c4 <label_1505>:
	v_mov_b32_e32 v52, v151                                    // 0000000091C4: 7E680397
	v_mov_b32_e32 v53, v151                                    // 0000000091C8: 7E6A0397
	v_mov_b32_e32 v54, v151                                    // 0000000091CC: 7E6C0397
	v_mov_b32_e32 v55, v151                                    // 0000000091D0: 7E6E0397
	s_branch label_151E                                        // 0000000091D4: BF820014

00000000000091d8 <label_150A>:
	s_mov_b32 s60, 0x80                                        // 0000000091D8: BEBC00FF 00000080
	v_and_b32_e32 v28, 15, v0                                  // 0000000091E0: 2638008F
	v_add_u32_e64 v28, v28, s60                                // 0000000091E4: D134001C 0000791C
	v_mul_i32_i24_e64 v29, s46, 16                             // 0000000091EC: D106001D 0001202E
	v_add_u32_e32 v28, v28, v29                                // 0000000091F4: 68383B1C
	v_cmp_lt_u32_e64 s[60:61], v28, s84                        // 0000000091F8: D0C9003C 0000A91C
	s_nop 1                                                    // 000000009200: BF800001
	v_cndmask_b32_e64 v56, v151, v56, s[60:61]                 // 000000009204: D1000038 00F27197
	v_cndmask_b32_e64 v57, v151, v57, s[60:61]                 // 00000000920C: D1000039 00F27397
	v_cndmask_b32_e64 v58, v151, v58, s[60:61]                 // 000000009214: D100003A 00F27597
	v_cndmask_b32_e64 v59, v151, v59, s[60:61]                 // 00000000921C: D100003B 00F27797
	s_branch label_1523                                        // 000000009224: BF820005

0000000000009228 <label_151E>:
	v_mov_b32_e32 v56, v151                                    // 000000009228: 7E700397
	v_mov_b32_e32 v57, v151                                    // 00000000922C: 7E720397
	v_mov_b32_e32 v58, v151                                    // 000000009230: 7E740397
	v_mov_b32_e32 v59, v151                                    // 000000009234: 7E760397
	s_branch label_1523                                        // 000000009238: BF820000

000000000000923c <label_1523>:
	s_addk_i32 s74, 0x1                                        // 00000000923C: B74A0001
	s_waitcnt lgkmcnt(8)                                       // 000000009240: BF8CC87F
	s_barrier                                                  // 000000009244: BF8A0000
	v_mfma_f32_16x16x16_f16 v[72:75], v[92:93], a[96:97], 0    // 000000009248: D3CD0048 1202C15C
	v_fma_f32 v48, v48, s57, -v124                             // 000000009250: D1CB0030 85F07330
	v_fma_f32 v49, v49, s57, -v125                             // 000000009258: D1CB0031 85F47331
	v_fma_f32 v50, v50, s57, -v126                             // 000000009260: D1CB0032 85F87332
	v_mfma_f32_16x16x16_f16 v[72:75], v[94:95], a[98:99], v[72:75]// 000000009268: D3CD0048 1522C55E
	ds_read_b128 a[144:147], v12 offset:4352                   // 000000009270: DBFE1100 9000000C
	ds_read_b128 a[148:151], v12 offset:4864                   // 000000009278: DBFE1300 9400000C
	v_mfma_f32_16x16x16_f16 v[72:75], v[96:97], a[100:101], v[72:75]// 000000009280: D3CD0048 1522C960
	v_fma_f32 v51, v51, s57, -v127                             // 000000009288: D1CB0033 85FC7333
	v_fma_f32 v52, v52, s57, -v124                             // 000000009290: D1CB0034 85F07334
	v_fma_f32 v53, v53, s57, -v125                             // 000000009298: D1CB0035 85F47335
	v_mfma_f32_16x16x16_f16 v[72:75], v[98:99], a[102:103], v[72:75]// 0000000092A0: D3CD0048 1522CD62
	v_fma_f32 v54, v54, s57, -v126                             // 0000000092A8: D1CB0036 85F87336
	v_fma_f32 v55, v55, s57, -v127                             // 0000000092B0: D1CB0037 85FC7337
	v_fma_f32 v56, v56, s57, -v124                             // 0000000092B8: D1CB0038 85F07338
	v_mfma_f32_16x16x16_f16 v[72:75], v[100:101], a[104:105], v[72:75]// 0000000092C0: D3CD0048 1522D164
	v_fma_f32 v57, v57, s57, -v125                             // 0000000092C8: D1CB0039 85F47339
	v_fma_f32 v58, v58, s57, -v126                             // 0000000092D0: D1CB003A 85F8733A
	v_fma_f32 v59, v59, s57, -v127                             // 0000000092D8: D1CB003B 85FC733B
	v_mfma_f32_16x16x16_f16 v[72:75], v[102:103], a[106:107], v[72:75]// 0000000092E0: D3CD0048 1522D566
	ds_read_b128 a[152:155], v12 offset:6528                   // 0000000092E8: DBFE1980 9800000C
	ds_read_b128 a[156:159], v12 offset:7040                   // 0000000092F0: DBFE1B80 9C00000C
	v_mfma_f32_16x16x16_f16 v[72:75], v[104:105], a[108:109], v[72:75]// 0000000092F8: D3CD0048 1522D968
	v_exp_f32_e32 v48, v48                                     // 000000009300: 7E604130
	v_mfma_f32_16x16x16_f16 v[72:75], v[106:107], a[110:111], v[72:75]// 000000009304: D3CD0048 1522DD6A
	v_exp_f32_e32 v49, v49                                     // 00000000930C: 7E624131
	v_mfma_f32_16x16x16_f16 v[76:79], v[92:93], a[112:113], 0  // 000000009310: D3CD004C 1202E15C
	v_exp_f32_e32 v50, v50                                     // 000000009318: 7E644132
	v_mfma_f32_16x16x16_f16 v[76:79], v[94:95], a[114:115], v[76:79]// 00000000931C: D3CD004C 1532E55E
	ds_read_b64 v[136:137], v19 offset:24320                   // 000000009324: D8EC5F00 88000013
	ds_read_b64 v[138:139], v19 offset:26368                   // 00000000932C: D8EC6700 8A000013
	v_mfma_f32_16x16x16_f16 v[76:79], v[96:97], a[116:117], v[76:79]// 000000009334: D3CD004C 1532E960
	v_exp_f32_e32 v51, v51                                     // 00000000933C: 7E664133
	v_mfma_f32_16x16x16_f16 v[76:79], v[98:99], a[118:119], v[76:79]// 000000009340: D3CD004C 1532ED62
	ds_read_b64 v[140:141], v19 offset:28416                   // 000000009348: D8EC6F00 8C000013
	ds_read_b64 v[142:143], v19 offset:30464                   // 000000009350: D8EC7700 8E000013
	v_mfma_f32_16x16x16_f16 v[76:79], v[100:101], a[120:121], v[76:79]// 000000009358: D3CD004C 1532F164
	v_exp_f32_e32 v52, v52                                     // 000000009360: 7E684134
	v_mfma_f32_16x16x16_f16 v[76:79], v[102:103], a[122:123], v[76:79]// 000000009364: D3CD004C 1532F566
	v_exp_f32_e32 v53, v53                                     // 00000000936C: 7E6A4135
	v_mfma_f32_16x16x16_f16 v[76:79], v[104:105], a[124:125], v[76:79]// 000000009370: D3CD004C 1532F968
	v_exp_f32_e32 v54, v54                                     // 000000009378: 7E6C4136
	v_mfma_f32_16x16x16_f16 v[76:79], v[106:107], a[126:127], v[76:79]// 00000000937C: D3CD004C 1532FD6A
	v_exp_f32_e32 v55, v55                                     // 000000009384: 7E6E4137
	v_mfma_f32_16x16x16_f16 v[80:83], v[92:93], a[128:129], 0  // 000000009388: D3CD0050 1203015C
	v_exp_f32_e32 v56, v56                                     // 000000009390: 7E704138
	v_mfma_f32_16x16x16_f16 v[80:83], v[94:95], a[130:131], v[80:83]// 000000009394: D3CD0050 1543055E
	v_exp_f32_e32 v57, v57                                     // 00000000939C: 7E724139
	v_mfma_f32_16x16x16_f16 v[80:83], v[96:97], a[132:133], v[80:83]// 0000000093A0: D3CD0050 15430960
	v_exp_f32_e32 v58, v58                                     // 0000000093A8: 7E74413A
	v_mfma_f32_16x16x16_f16 v[80:83], v[98:99], a[134:135], v[80:83]// 0000000093AC: D3CD0050 15430D62
	v_exp_f32_e32 v59, v59                                     // 0000000093B4: 7E76413B
	v_mfma_f32_16x16x16_f16 v[80:83], v[100:101], a[136:137], v[80:83]// 0000000093B8: D3CD0050 15431164
	v_cvt_pkrtz_f16_f32 v144, v48, v49                         // 0000000093C0: D2960090 00026330
	v_cvt_pkrtz_f16_f32 v145, v50, v51                         // 0000000093C8: D2960091 00026732
	v_cvt_pkrtz_f16_f32 v146, v52, v53                         // 0000000093D0: D2960092 00026B34
	v_mfma_f32_16x16x16_f16 v[80:83], v[102:103], a[138:139], v[80:83]// 0000000093D8: D3CD0050 15431566
	v_cvt_pkrtz_f16_f32 v147, v54, v55                         // 0000000093E0: D2960093 00026F36
	v_cvt_pkrtz_f16_f32 v148, v56, v57                         // 0000000093E8: D2960094 00027338
	v_cvt_pkrtz_f16_f32 v149, v58, v59                         // 0000000093F0: D2960095 0002773A
	v_mfma_f32_16x16x16_f16 v[80:83], v[104:105], a[140:141], v[80:83]// 0000000093F8: D3CD0050 15431968
	v_add_u32_e32 v7, s66, v7                                  // 000000009400: 680E0E42
	v_add_u32_e32 v8, s66, v8                                  // 000000009404: 68101042
	v_mfma_f32_16x16x16_f16 v[80:83], v[106:107], a[142:143], v[80:83]// 000000009408: D3CD0050 15431D6A
	s_waitcnt lgkmcnt(0)                                       // 000000009410: BF8CC07F
	s_barrier                                                  // 000000009414: BF8A0000
	v_mfma_f32_16x16x16_f16 v[152:155], v[108:109], v[144:145], v[152:155]// 000000009418: D3CD0098 0663216C
	v_subrev_f32_dpp v72, v150, v72 quad_perm:[0,0,0,0] row_mask:0xf bank_mask:0xf// 000000009420: 069090FA FF000096
	v_subrev_f32_dpp v73, v150, v73 quad_perm:[1,1,1,1] row_mask:0xf bank_mask:0xf// 000000009428: 069292FA FF005596
	v_subrev_f32_dpp v74, v150, v74 quad_perm:[2,2,2,2] row_mask:0xf bank_mask:0xf// 000000009430: 069494FA FF00AA96
	v_mfma_f32_16x16x16_f16 v[156:159], v[110:111], v[144:145], v[156:159]// 000000009438: D3CD009C 0673216E
	v_subrev_f32_dpp v75, v150, v75 quad_perm:[3,3,3,3] row_mask:0xf bank_mask:0xf// 000000009440: 069696FA FF00FF96
	v_subrev_f32_dpp v76, v150, v76 quad_perm:[0,0,0,0] row_mask:0xf bank_mask:0xf// 000000009448: 069898FA FF000096
	v_subrev_f32_dpp v77, v150, v77 quad_perm:[1,1,1,1] row_mask:0xf bank_mask:0xf// 000000009450: 069A9AFA FF005596
	v_mfma_f32_16x16x16_f16 v[160:163], v[112:113], v[144:145], v[160:163]// 000000009458: D3CD00A0 06832170
	v_mul_f32_e32 v72, v48, v72                                // 000000009460: 0A909130
	v_mul_f32_e32 v73, v49, v73                                // 000000009464: 0A929331
	v_mul_f32_e32 v74, v50, v74                                // 000000009468: 0A949532
	v_mfma_f32_16x16x16_f16 v[164:167], v[114:115], v[144:145], v[164:167]// 00000000946C: D3CD00A4 06932172
	v_mul_f32_e32 v75, v51, v75                                // 000000009474: 0A969733
	v_mul_f32_e32 v76, v52, v76                                // 000000009478: 0A989934
	v_mul_f32_e32 v77, v53, v77                                // 00000000947C: 0A9A9B35
	v_mfma_f32_16x16x16_f16 v[168:171], v[116:117], v[144:145], v[168:171]// 000000009480: D3CD00A8 06A32174
	v_cvt_pkrtz_f16_f32 v72, v72, v73                          // 000000009488: D2960048 00029348
	v_cvt_pkrtz_f16_f32 v73, v74, v75                          // 000000009490: D2960049 0002974A
	v_cvt_pkrtz_f16_f32 v74, v76, v77                          // 000000009498: D296004A 00029B4C
	v_mfma_f32_16x16x16_f16 v[172:175], v[118:119], v[144:145], v[172:175]// 0000000094A0: D3CD00AC 06B32176
	v_mov_b32_dpp v16, v72 quad_perm:[1,0,3,2] row_mask:0xf bank_mask:0xf// 0000000094A8: 7E2002FA FF00B148
	v_perm_b32 v48, v16, v72, v15                              // 0000000094B0: D1ED0030 043E9110
	v_mov_b32_dpp v16, v73 quad_perm:[1,0,3,2] row_mask:0xf bank_mask:0xf// 0000000094B8: 7E2002FA FF00B149
	v_mfma_f32_16x16x16_f16 v[176:179], v[120:121], v[144:145], v[176:179]// 0000000094C0: D3CD00B0 06C32178
	ds_write_b32 v18, v48 offset:17408                         // 0000000094C8: D81A4400 00003012
	v_mfma_f32_16x16x16_f16 v[180:183], v[122:123], v[144:145], v[180:183]// 0000000094D0: D3CD00B4 06D3217A
	v_perm_b32 v49, v16, v73, v15                              // 0000000094D8: D1ED0031 043E9310
	v_mov_b32_dpp v16, v74 quad_perm:[1,0,3,2] row_mask:0xf bank_mask:0xf// 0000000094E0: 7E2002FA FF00B14A
	v_perm_b32 v50, v16, v74, v15                              // 0000000094E8: D1ED0032 043E9510
	v_mfma_f32_16x16x16_f16 v[184:187], v[108:109], v[146:147], v[184:187]// 0000000094F0: D3CD00B8 06E3256C
	ds_write_b32 v18, v49 offset:17952                         // 0000000094F8: D81A4620 00003112
	v_mfma_f32_16x16x16_f16 v[188:191], v[110:111], v[146:147], v[188:191]// 000000009500: D3CD00BC 06F3256E
	v_subrev_f32_dpp v78, v150, v78 quad_perm:[2,2,2,2] row_mask:0xf bank_mask:0xf// 000000009508: 069C9CFA FF00AA96
	v_subrev_f32_dpp v79, v150, v79 quad_perm:[3,3,3,3] row_mask:0xf bank_mask:0xf// 000000009510: 069E9EFA FF00FF96
	v_subrev_f32_dpp v80, v150, v80 quad_perm:[0,0,0,0] row_mask:0xf bank_mask:0xf// 000000009518: 06A0A0FA FF000096
	v_mfma_f32_16x16x16_f16 v[192:195], v[112:113], v[146:147], v[192:195]// 000000009520: D3CD00C0 07032570
	ds_write_b32 v18, v50 offset:19712                         // 000000009528: D81A4D00 00003212
	v_mfma_f32_16x16x16_f16 v[196:199], v[114:115], v[146:147], v[196:199]// 000000009530: D3CD00C4 07132572
	v_subrev_f32_dpp v81, v150, v81 quad_perm:[1,1,1,1] row_mask:0xf bank_mask:0xf// 000000009538: 06A2A2FA FF005596
	v_subrev_f32_dpp v82, v150, v82 quad_perm:[2,2,2,2] row_mask:0xf bank_mask:0xf// 000000009540: 06A4A4FA FF00AA96
	v_subrev_f32_dpp v83, v150, v83 quad_perm:[3,3,3,3] row_mask:0xf bank_mask:0xf// 000000009548: 06A6A6FA FF00FF96
	v_mfma_f32_16x16x16_f16 v[200:203], v[116:117], v[146:147], v[200:203]// 000000009550: D3CD00C8 07232574
	v_mul_f32_e32 v78, v54, v78                                // 000000009558: 0A9C9D36
	v_mul_f32_e32 v79, v55, v79                                // 00000000955C: 0A9E9F37
	v_mul_f32_e32 v80, v56, v80                                // 000000009560: 0AA0A138
	v_mfma_f32_16x16x16_f16 v[204:207], v[118:119], v[146:147], v[204:207]// 000000009564: D3CD00CC 07332576
	v_mul_f32_e32 v81, v57, v81                                // 00000000956C: 0AA2A339
	v_mul_f32_e32 v82, v58, v82                                // 000000009570: 0AA4A53A
	v_mul_f32_e32 v83, v59, v83                                // 000000009574: 0AA6A73B
	v_mfma_f32_16x16x16_f16 v[208:211], v[120:121], v[146:147], v[208:211]// 000000009578: D3CD00D0 07432578
	v_cvt_pkrtz_f16_f32 v75, v78, v79                          // 000000009580: D296004B 00029F4E
	v_cvt_pkrtz_f16_f32 v76, v80, v81                          // 000000009588: D296004C 0002A350
	v_cvt_pkrtz_f16_f32 v77, v82, v83                          // 000000009590: D296004D 0002A752
	v_mfma_f32_16x16x16_f16 v[212:215], v[122:123], v[146:147], v[212:215]// 000000009598: D3CD00D4 0753257A
	v_mov_b32_dpp v16, v75 quad_perm:[1,0,3,2] row_mask:0xf bank_mask:0xf// 0000000095A0: 7E2002FA FF00B14B
	v_perm_b32 v51, v16, v75, v15                              // 0000000095A8: D1ED0033 043E9710
	v_mov_b32_dpp v16, v76 quad_perm:[1,0,3,2] row_mask:0xf bank_mask:0xf// 0000000095B0: 7E2002FA FF00B14C
	v_mfma_f32_16x16x16_f16 v[216:219], v[108:109], v[148:149], v[216:219]// 0000000095B8: D3CD00D8 0763296C
	ds_write_b32 v18, v51 offset:20256                         // 0000000095C0: D81A4F20 00003312
	v_mfma_f32_16x16x16_f16 v[220:223], v[110:111], v[148:149], v[220:223]// 0000000095C8: D3CD00DC 0773296E
	v_perm_b32 v52, v16, v76, v15                              // 0000000095D0: D1ED0034 043E9910
	v_mov_b32_dpp v16, v77 quad_perm:[1,0,3,2] row_mask:0xf bank_mask:0xf// 0000000095D8: 7E2002FA FF00B14D
	v_perm_b32 v53, v16, v77, v15                              // 0000000095E0: D1ED0035 043E9B10
	v_mfma_f32_16x16x16_f16 v[224:227], v[112:113], v[148:149], v[224:227]// 0000000095E8: D3CD00E0 07832970
	ds_write_b32 v18, v52 offset:22016                         // 0000000095F0: D81A5600 00003412
	ds_write_b32 v18, v53 offset:22560                         // 0000000095F8: D81A5820 00003512
	v_mfma_f32_16x16x16_f16 v[228:231], v[114:115], v[148:149], v[228:231]// 000000009600: D3CD00E4 07932972
	v_mfma_f32_16x16x16_f16 v[232:235], v[116:117], v[148:149], v[232:235]// 000000009608: D3CD00E8 07A32974
	ds_write_b32 v13, v84 offset:4352                          // 000000009610: D81A1100 0000540D
	ds_write_b32 v13, v85 offset:5408                          // 000000009618: D81A1520 0000550D
	v_mfma_f32_16x16x16_f16 v[236:239], v[118:119], v[148:149], v[236:239]// 000000009620: D3CD00EC 07B32976
	v_mfma_f32_16x16x16_f16 v[240:243], v[120:121], v[148:149], v[240:243]// 000000009628: D3CD00F0 07C32978
	ds_write_b32 v13, v86 offset:4480                          // 000000009630: D81A1180 0000560D
	ds_write_b32 v13, v87 offset:5536                          // 000000009638: D81A15A0 0000570D
	v_mfma_f32_16x16x16_f16 v[244:247], v[122:123], v[148:149], v[244:247]// 000000009640: D3CD00F4 07D3297A
	s_nop 0                                                    // 000000009648: BF800000
	s_nop 0                                                    // 00000000964C: BF800000
	s_nop 0                                                    // 000000009650: BF800000
	s_barrier                                                  // 000000009654: BF8A0000
	v_mfma_f32_16x16x16_f16 a[160:163], a[144:145], v[72:73], a[160:163]// 000000009658: D3CD80A0 0E829190
	ds_read_b32 v124, v21 offset:50688                         // 000000009660: D86CC600 7C000015
	ds_read_b32 v150, v21 offset:50944                         // 000000009668: D86CC700 96000015
	v_mfma_f32_16x16x16_f16 a[164:167], a[146:147], v[72:73], a[164:167]// 000000009670: D3CD80A4 0E929192
	buffer_atomic_add_f32 v136, v7, s[32:35], 0 offen          // 000000009678: E1341000 80088807
	v_mfma_f32_16x16x16_f16 a[168:171], a[148:149], v[72:73], a[168:171]// 000000009680: D3CD80A8 0EA29194
	s_waitcnt lgkmcnt(6)                                       // 000000009688: BF8CC67F
	s_barrier                                                  // 00000000968C: BF8A0000
	v_mfma_f32_16x16x16_f16 a[172:175], a[150:151], v[72:73], a[172:175]// 000000009690: D3CD80AC 0EB29196
	v_mfma_f32_16x16x16_f16 a[176:179], a[152:153], v[72:73], a[176:179]// 000000009698: D3CD80B0 0EC29198
	ds_read_b128 v[48:51], v17 offset:17408                    // 0000000096A0: D9FE4400 30000011
	v_mfma_f32_16x16x16_f16 a[180:183], a[154:155], v[72:73], a[180:183]// 0000000096A8: D3CD80B4 0ED2919A
	v_mfma_f32_16x16x16_f16 a[184:187], a[156:157], v[72:73], a[184:187]// 0000000096B0: D3CD80B8 0EE2919C
	ds_read_b128 v[52:55], v17 offset:18560                    // 0000000096B8: D9FE4880 34000011
	v_mfma_f32_16x16x16_f16 a[188:191], a[158:159], v[72:73], a[188:191]// 0000000096C0: D3CD80BC 0EF2919E
	buffer_atomic_add_f32 v137, v8, s[32:35], 0 offen          // 0000000096C8: E1341000 80088908
	v_mfma_f32_16x16x16_f16 a[192:195], a[144:145], v[74:75], a[192:195]// 0000000096D0: D3CD80C0 0F029590
	ds_read_b128 v[56:59], v17 offset:19712                    // 0000000096D8: D9FE4D00 38000011
	v_mfma_f32_16x16x16_f16 a[196:199], a[146:147], v[74:75], a[196:199]// 0000000096E0: D3CD80C4 0F129592
	v_mfma_f32_16x16x16_f16 a[200:203], a[148:149], v[74:75], a[200:203]// 0000000096E8: D3CD80C8 0F229594
	ds_read_b128 v[60:63], v17 offset:20864                    // 0000000096F0: D9FE5180 3C000011
	v_mfma_f32_16x16x16_f16 a[204:207], a[150:151], v[74:75], a[204:207]// 0000000096F8: D3CD80CC 0F329596
	v_mfma_f32_16x16x16_f16 a[208:211], a[152:153], v[74:75], a[208:211]// 000000009700: D3CD80D0 0F429598
	ds_read_b128 v[64:67], v17 offset:22016                    // 000000009708: D9FE5600 40000011
	v_mfma_f32_16x16x16_f16 a[212:215], a[154:155], v[74:75], a[212:215]// 000000009710: D3CD80D4 0F52959A
	buffer_atomic_add_f32 v138, v7, s[32:35], 0 offen offset:128// 000000009718: E1341080 80088A07
	v_mfma_f32_16x16x16_f16 a[216:219], a[156:157], v[74:75], a[216:219]// 000000009720: D3CD80D8 0F62959C
	ds_read_b128 v[68:71], v17 offset:23168                    // 000000009728: D9FE5A80 44000011
	v_mfma_f32_16x16x16_f16 a[220:223], a[158:159], v[74:75], a[220:223]// 000000009730: D3CD80DC 0F72959E
	v_mfma_f32_16x16x16_f16 a[224:227], a[144:145], v[76:77], a[224:227]// 000000009738: D3CD80E0 0F829990
	ds_write_b32 v13, v88 offset:13056                         // 000000009740: D81A3300 0000580D
	v_mfma_f32_16x16x16_f16 a[228:231], a[146:147], v[76:77], a[228:231]// 000000009748: D3CD80E4 0F929992
	v_mfma_f32_16x16x16_f16 a[232:235], a[148:149], v[76:77], a[232:235]// 000000009750: D3CD80E8 0FA29994
	ds_write_b32 v13, v89 offset:14112                         // 000000009758: D81A3720 0000590D
	v_mfma_f32_16x16x16_f16 a[236:239], a[150:151], v[76:77], a[236:239]// 000000009760: D3CD80EC 0FB29996
	buffer_atomic_add_f32 v139, v8, s[32:35], 0 offen offset:128// 000000009768: E1341080 80088B08
	v_mfma_f32_16x16x16_f16 a[240:243], a[152:153], v[76:77], a[240:243]// 000000009770: D3CD80F0 0FC29998
	ds_write_b32 v13, v90 offset:13184                         // 000000009778: D81A3380 00005A0D
	v_mfma_f32_16x16x16_f16 a[244:247], a[154:155], v[76:77], a[244:247]// 000000009780: D3CD80F4 0FD2999A
	v_mfma_f32_16x16x16_f16 a[248:251], a[156:157], v[76:77], a[248:251]// 000000009788: D3CD80F8 0FE2999C
	ds_write_b32 v13, v91 offset:14240                         // 000000009790: D81A37A0 00005B0D
	v_mfma_f32_16x16x16_f16 a[252:255], a[158:159], v[76:77], a[252:255]// 000000009798: D3CD80FC 0FF2999E
	s_waitcnt vmcnt(8) lgkmcnt(4)                              // 0000000097A0: BF8C0478
	s_barrier                                                  // 0000000097A4: BF8A0000
	v_mfma_f32_16x16x16_f16 v[128:131], v[48:49], a[48:49], 0  // 0000000097A8: D3CD0080 12026130
	ds_read_b128 a[144:147], v10                               // 0000000097B0: DBFE0000 9000000A
	v_mov_b32_e32 v32, 0                                       // 0000000097B8: 7E400280
	s_mov_b64 exec, s[80:81]                                   // 0000000097BC: BEFE0150
	buffer_load_dword v32, v1, s[8:11], 0 idxen                // 0000000097C0: E0502000 80022001
	s_mov_b32 exec_lo, -1                                      // 0000000097C8: BEFE00C1
	s_mov_b32 exec_hi, -1                                      // 0000000097CC: BEFF00C1
	v_mfma_f32_16x16x16_f16 v[128:131], v[50:51], a[52:53], v[128:131]// 0000000097D0: D3CD0080 16026932
	v_mul_f32_e32 v124, s48, v124                              // 0000000097D8: 0AF8F830
	s_nop 0                                                    // 0000000097DC: BF800000
	v_mfma_f32_16x16x16_f16 v[128:131], v[52:53], a[56:57], v[128:131]// 0000000097E0: D3CD0080 16027134
	ds_read_b128 a[148:151], v10 offset:512                    // 0000000097E8: DBFE0200 9400000A
	v_mov_b32_e32 v33, 0                                       // 0000000097F0: 7E420280
	s_mov_b64 exec, s[80:81]                                   // 0000000097F4: BEFE0150
	buffer_load_dword v33, v2, s[8:11], 0 idxen                // 0000000097F8: E0502000 80022102
	s_mov_b32 exec_lo, -1                                      // 000000009800: BEFE00C1
	s_mov_b32 exec_hi, -1                                      // 000000009804: BEFF00C1
	v_mfma_f32_16x16x16_f16 v[128:131], v[54:55], a[60:61], v[128:131]// 000000009808: D3CD0080 16027936
	v_mfma_f32_16x16x16_f16 v[128:131], v[56:57], a[64:65], v[128:131]// 000000009810: D3CD0080 16028138
	ds_read_b128 a[152:155], v10 offset:2176                   // 000000009818: DBFE0880 9800000A
	v_mov_b32_e32 v34, 0                                       // 000000009820: 7E440280
	s_mov_b64 exec, s[80:81]                                   // 000000009824: BEFE0150
	buffer_load_dword v34, v3, s[8:11], 0 idxen                // 000000009828: E0502000 80022203
	s_mov_b32 exec_lo, -1                                      // 000000009830: BEFE00C1
	s_mov_b32 exec_hi, -1                                      // 000000009834: BEFF00C1
	v_mfma_f32_16x16x16_f16 v[128:131], v[58:59], a[68:69], v[128:131]// 000000009838: D3CD0080 1602893A
	v_perm_b32 v84, v37, v36, s63                              // 000000009840: D1ED0054 00FE4925
	v_perm_b32 v85, v37, v36, s64                              // 000000009848: D1ED0055 01024925
	v_mfma_f32_16x16x16_f16 v[128:131], v[60:61], a[72:73], v[128:131]// 000000009850: D3CD0080 1602913C
	ds_read_b128 a[156:159], v10 offset:2688                   // 000000009858: DBFE0A80 9C00000A
	v_mov_b32_e32 v35, 0                                       // 000000009860: 7E460280
	s_mov_b64 exec, s[80:81]                                   // 000000009864: BEFE0150
	buffer_load_dword v35, v4, s[8:11], 0 idxen                // 000000009868: E0502000 80022304
	s_mov_b32 exec_lo, -1                                      // 000000009870: BEFE00C1
	s_mov_b32 exec_hi, -1                                      // 000000009874: BEFF00C1
	v_mfma_f32_16x16x16_f16 v[128:131], v[62:63], a[76:77], v[128:131]// 000000009878: D3CD0080 1602993E
	v_perm_b32 v86, v39, v38, s63                              // 000000009880: D1ED0056 00FE4D27
	v_perm_b32 v87, v39, v38, s64                              // 000000009888: D1ED0057 01024D27
	v_mfma_f32_16x16x16_f16 v[128:131], v[64:65], a[80:81], v[128:131]// 000000009890: D3CD0080 1602A140
	ds_read_b128 v[92:95], v10 offset:8704                     // 000000009898: D9FE2200 5C00000A
	v_mov_b32_e32 v40, 0                                       // 0000000098A0: 7E500280
	s_mov_b64 exec, s[80:81]                                   // 0000000098A4: BEFE0150
	buffer_load_dword v40, v248, s[20:23], 0 idxen             // 0000000098A8: E0502000 800528F8
	s_mov_b32 exec_lo, -1                                      // 0000000098B0: BEFE00C1
	s_mov_b32 exec_hi, -1                                      // 0000000098B4: BEFF00C1
	v_mfma_f32_16x16x16_f16 v[128:131], v[66:67], a[84:85], v[128:131]// 0000000098B8: D3CD0080 1602A942
	v_perm_b32 v88, v45, v44, s63                              // 0000000098C0: D1ED0058 00FE592D
	v_perm_b32 v89, v45, v44, s64                              // 0000000098C8: D1ED0059 0102592D
	v_mfma_f32_16x16x16_f16 v[128:131], v[68:69], a[88:89], v[128:131]// 0000000098D0: D3CD0080 1602B144
	ds_read_b128 v[96:99], v10 offset:9216                     // 0000000098D8: D9FE2400 6000000A
	v_mov_b32_e32 v41, 0                                       // 0000000098E0: 7E520280
	s_mov_b64 exec, s[80:81]                                   // 0000000098E4: BEFE0150
	buffer_load_dword v41, v249, s[20:23], 0 idxen             // 0000000098E8: E0502000 800529F9
	s_mov_b32 exec_lo, -1                                      // 0000000098F0: BEFE00C1
	s_mov_b32 exec_hi, -1                                      // 0000000098F4: BEFF00C1
	v_mfma_f32_16x16x16_f16 v[128:131], v[70:71], a[92:93], v[128:131]// 0000000098F8: D3CD0080 1602B946
	v_perm_b32 v90, v47, v46, s63                              // 000000009900: D1ED005A 00FE5D2F
	v_perm_b32 v91, v47, v46, s64                              // 000000009908: D1ED005B 01025D2F
	v_mfma_f32_16x16x16_f16 v[132:135], v[48:49], a[50:51], 0  // 000000009910: D3CD0084 12026530
	ds_read_b128 v[100:103], v10 offset:10880                  // 000000009918: D9FE2A80 6400000A
	v_mov_b32_e32 v42, 0                                       // 000000009920: 7E540280
	s_mov_b64 exec, s[80:81]                                   // 000000009924: BEFE0150
	buffer_load_dword v42, v250, s[20:23], 0 idxen             // 000000009928: E0502000 80052AFA
	s_mov_b32 exec_lo, -1                                      // 000000009930: BEFE00C1
	s_mov_b32 exec_hi, -1                                      // 000000009934: BEFF00C1
	v_mfma_f32_16x16x16_f16 v[132:135], v[50:51], a[54:55], v[132:135]// 000000009938: D3CD0084 16126D32
	v_mov_b32_dpp v127, v124 quad_perm:[3,3,3,3] row_mask:0xf bank_mask:0xf// 000000009940: 7EFE02FA FF00FF7C
	v_mov_b32_dpp v126, v124 quad_perm:[2,2,2,2] row_mask:0xf bank_mask:0xf// 000000009948: 7EFC02FA FF00AA7C
	v_mfma_f32_16x16x16_f16 v[132:135], v[52:53], a[58:59], v[132:135]// 000000009950: D3CD0084 16127534
	ds_read_b128 v[104:107], v10 offset:11392                  // 000000009958: D9FE2C80 6800000A
	v_mov_b32_e32 v43, 0                                       // 000000009960: 7E560280
	s_mov_b64 exec, s[80:81]                                   // 000000009964: BEFE0150
	buffer_load_dword v43, v251, s[20:23], 0 idxen             // 000000009968: E0502000 80052BFB
	s_mov_b32 exec_lo, -1                                      // 000000009970: BEFE00C1
	s_mov_b32 exec_hi, -1                                      // 000000009974: BEFF00C1
	v_mfma_f32_16x16x16_f16 v[132:135], v[54:55], a[62:63], v[132:135]// 000000009978: D3CD0084 16127D36
	v_mov_b32_dpp v125, v124 quad_perm:[1,1,1,1] row_mask:0xf bank_mask:0xf// 000000009980: 7EFA02FA FF00557C
	v_mov_b32_dpp v124, v124 quad_perm:[0,0,0,0] row_mask:0xf bank_mask:0xf// 000000009988: 7EF802FA FF00007C
	s_add_u32 s60, 64, s59                                     // 000000009990: 803C3BC0
	v_mfma_f32_16x16x16_f16 v[132:135], v[56:57], a[66:67], v[132:135]// 000000009994: D3CD0084 16128538
	buffer_load_dword v9, s[24:27], 0 idxen lds                // 00000000999C: E0512000 80060009
	v_mfma_f32_16x16x16_f16 v[132:135], v[58:59], a[70:71], v[132:135]// 0000000099A4: D3CD0084 16128D3A
	s_cmp_lt_u32 s60, s58                                      // 0000000099AC: BF0A3A3C
	s_cselect_b32 s68, s68, 0                                  // 0000000099B0: 85448044
	s_cselect_b32 s100, s100, 0                                // 0000000099B4: 85648064
	s_cselect_b32 s69, s69, 0                                  // 0000000099B8: 85458045
	v_mfma_f32_16x16x16_f16 v[132:135], v[60:61], a[74:75], v[132:135]// 0000000099BC: D3CD0084 1612953C
	v_add_u32_e32 v1, s68, v1                                  // 0000000099C4: 68020244
	v_add_u32_e32 v2, s68, v2                                  // 0000000099C8: 68040444
	v_add_u32_e32 v3, s68, v3                                  // 0000000099CC: 68060644
	v_add_u32_e32 v4, s68, v4                                  // 0000000099D0: 68080844
	v_mfma_f32_16x16x16_f16 v[132:135], v[62:63], a[78:79], v[132:135]// 0000000099D4: D3CD0084 16129D3E
	v_add_u32_e32 v248, s100, v248                             // 0000000099DC: 69F1F064
	v_add_u32_e32 v249, s100, v249                             // 0000000099E0: 69F3F264
	v_add_u32_e32 v250, s100, v250                             // 0000000099E4: 69F5F464
	v_add_u32_e32 v251, s100, v251                             // 0000000099E8: 69F7F664
	v_mfma_f32_16x16x16_f16 v[132:135], v[64:65], a[82:83], v[132:135]// 0000000099EC: D3CD0084 1612A540
	s_mov_b32 m0, s79                                          // 0000000099F4: BEFC004F
	v_add_u32_e32 v9, s69, v9                                  // 0000000099F8: 68121245
	v_mfma_f32_16x16x16_f16 v[132:135], v[66:67], a[86:87], v[132:135]// 0000000099FC: D3CD0084 1612AD42
	s_cmp_ge_u32 s59, s73                                      // 000000009A04: BF09493B
	s_cselect_b32 s66, s67, s66                                // 000000009A08: 85424243
	v_mfma_f32_16x16x16_f16 v[132:135], v[68:69], a[90:91], v[132:135]// 000000009A0C: D3CD0084 1612B544
	s_addk_i32 s59, 0x10                                       // 000000009A14: B73B0010
	s_nop 0                                                    // 000000009A18: BF800000
	s_cmp_lt_i32 s59, s58                                      // 000000009A1C: BF043A3B
	v_mfma_f32_16x16x16_f16 v[132:135], v[70:71], a[94:95], v[132:135]// 000000009A20: D3CD0084 1612BD46
	s_cbranch_scc0 label_10C4                                  // 000000009A28: BF84F9AF
	s_branch label_10CB                                        // 000000009A2C: BF82F9B5

0000000000009a30 <label_1720>:
	buffer_atomic_add_f32 v140, v7, s[32:35], 0 offen offset:256// 000000009A30: E1341100 80088C07
	buffer_atomic_add_f32 v141, v8, s[32:35], 0 offen offset:256// 000000009A38: E1341100 80088D08
	buffer_atomic_add_f32 v142, v7, s[32:35], 0 offen offset:384// 000000009A40: E1341180 80088E07
	buffer_atomic_add_f32 v143, v8, s[32:35], 0 offen offset:384// 000000009A48: E1341180 80088F08
	v_add_u32_e32 v7, s66, v7                                  // 000000009A50: 680E0E42
	v_add_u32_e32 v8, s66, v8                                  // 000000009A54: 68101042
	v_lshrrev_b32_e32 v28, 5, v0                               // 000000009A58: 20380085
	v_mul_i32_i24_e32 v25, 0x42, v28                           // 000000009A5C: 0C3238FF 00000042
	v_and_b32_e32 v28, 31, v0                                  // 000000009A64: 2638009F
	v_mul_i32_i24_e32 v29, 2, v28                              // 000000009A68: 0C3A3882
	v_add_u32_e32 v25, v29, v25                                // 000000009A6C: 6832331D
	s_mul_i32 s60, s46, 0x420                                  // 000000009A70: 923CFF2E 00000420
	v_add_u32_e32 v25, s60, v25                                // 000000009A78: 6832323C
	v_lshlrev_b32_e32 v25, 2, v25                              // 000000009A7C: 24323282
	v_mul_f32_e32 v128, s47, v128                              // 000000009A80: 0B01002F
	v_mul_f32_e32 v129, s47, v129                              // 000000009A84: 0B03022F
	v_mul_f32_e32 v130, s47, v130                              // 000000009A88: 0B05042F
	v_mul_f32_e32 v131, s47, v131                              // 000000009A8C: 0B07062F
	v_mul_f32_e32 v132, s47, v132                              // 000000009A90: 0B09082F
	v_mul_f32_e32 v133, s47, v133                              // 000000009A94: 0B0B0A2F
	v_mul_f32_e32 v134, s47, v134                              // 000000009A98: 0B0D0C2F
	v_mul_f32_e32 v135, s47, v135                              // 000000009A9C: 0B0F0E2F
	ds_write_b64 v20, v[128:129] offset:24320                  // 000000009AA0: D89A5F00 00008014
	ds_write_b64 v20, v[130:131] offset:24832                  // 000000009AA8: D89A6100 00008214
	ds_write_b64 v20, v[132:133] offset:25344                  // 000000009AB0: D89A6300 00008414
	ds_write_b64 v20, v[134:135] offset:25856                  // 000000009AB8: D89A6500 00008614
	s_waitcnt lgkmcnt(0)                                       // 000000009AC0: BF8CC07F
	s_barrier                                                  // 000000009AC4: BF8A0000
	ds_read_b64 v[136:137], v19 offset:24320                   // 000000009AC8: D8EC5F00 88000013
	ds_read_b64 v[138:139], v19 offset:26368                   // 000000009AD0: D8EC6700 8A000013
	ds_read_b64 v[140:141], v19 offset:28416                   // 000000009AD8: D8EC6F00 8C000013
	ds_read_b64 v[142:143], v19 offset:30464                   // 000000009AE0: D8EC7700 8E000013
	s_waitcnt lgkmcnt(0)                                       // 000000009AE8: BF8CC07F
	s_barrier                                                  // 000000009AEC: BF8A0000
	buffer_atomic_add_f32 v136, v7, s[32:35], 0 offen          // 000000009AF0: E1341000 80088807
	buffer_atomic_add_f32 v137, v8, s[32:35], 0 offen          // 000000009AF8: E1341000 80088908
	buffer_atomic_add_f32 v138, v7, s[32:35], 0 offen offset:128// 000000009B00: E1341080 80088A07
	buffer_atomic_add_f32 v139, v8, s[32:35], 0 offen offset:128// 000000009B08: E1341080 80088B08
	buffer_atomic_add_f32 v140, v7, s[32:35], 0 offen offset:256// 000000009B10: E1341100 80088C07
	buffer_atomic_add_f32 v141, v8, s[32:35], 0 offen offset:256// 000000009B18: E1341100 80088D08
	buffer_atomic_add_f32 v142, v7, s[32:35], 0 offen offset:384// 000000009B20: E1341180 80088E07
	buffer_atomic_add_f32 v143, v8, s[32:35], 0 offen offset:384// 000000009B28: E1341180 80088F08
	v_lshrrev_b32_e32 v28, 4, v0                               // 000000009B30: 20380084
	v_mul_i32_i24_e32 v24, 2, v28                              // 000000009B34: 0C303882
	v_and_b32_e32 v28, 15, v0                                  // 000000009B38: 2638008F
	v_mul_i32_i24_e32 v29, 0x42, v28                           // 000000009B3C: 0C3A38FF 00000042
	v_add_u32_e32 v24, v29, v24                                // 000000009B44: 6830311D
	s_mul_i32 s60, s46, 0x420                                  // 000000009B48: 923CFF2E 00000420
	v_add_u32_e32 v24, s60, v24                                // 000000009B50: 6830303C
	v_lshlrev_b32_e32 v24, 2, v24                              // 000000009B54: 24303082
	v_and_b32_e32 v28, 15, v0                                  // 000000009B58: 2638008F
	v_mov_b32_e32 v29, s50                                     // 000000009B5C: 7E3A0232
	v_lshrrev_b32_e32 v29, 3, v29                              // 000000009B60: 203A3A83
	v_cmp_lt_u32_e64 s[80:81], v28, v29                        // 000000009B64: D0C90050 00023B1C
	v_accvgpr_read_b32 v28, a160                               // 000000009B6C: D3D8401C 180001A0
	v_accvgpr_read_b32 v29, a161                               // 000000009B74: D3D8401D 180001A1
	v_mul_f32_e32 v28, s47, v28                                // 000000009B7C: 0A38382F
	v_mul_f32_e32 v29, s47, v29                                // 000000009B80: 0A3A3A2F
	v_cvt_pkrtz_f16_f32 v48, v28, v29                          // 000000009B84: D2960030 00023B1C
	v_accvgpr_read_b32 v28, a162                               // 000000009B8C: D3D8401C 180001A2
	v_accvgpr_read_b32 v29, a163                               // 000000009B94: D3D8401D 180001A3
	v_mul_f32_e32 v28, s47, v28                                // 000000009B9C: 0A38382F
	v_mul_f32_e32 v29, s47, v29                                // 000000009BA0: 0A3A3A2F
	v_cvt_pkrtz_f16_f32 v49, v28, v29                          // 000000009BA4: D2960031 00023B1C
	v_accvgpr_read_b32 v28, a164                               // 000000009BAC: D3D8401C 180001A4
	v_accvgpr_read_b32 v29, a165                               // 000000009BB4: D3D8401D 180001A5
	v_mul_f32_e32 v28, s47, v28                                // 000000009BBC: 0A38382F
	v_mul_f32_e32 v29, s47, v29                                // 000000009BC0: 0A3A3A2F
	v_cvt_pkrtz_f16_f32 v50, v28, v29                          // 000000009BC4: D2960032 00023B1C
	v_accvgpr_read_b32 v28, a166                               // 000000009BCC: D3D8401C 180001A6
	v_accvgpr_read_b32 v29, a167                               // 000000009BD4: D3D8401D 180001A7
	v_mul_f32_e32 v28, s47, v28                                // 000000009BDC: 0A38382F
	v_mul_f32_e32 v29, s47, v29                                // 000000009BE0: 0A3A3A2F
	v_cvt_pkrtz_f16_f32 v51, v28, v29                          // 000000009BE4: D2960033 00023B1C
	v_accvgpr_read_b32 v28, a168                               // 000000009BEC: D3D8401C 180001A8
	v_accvgpr_read_b32 v29, a169                               // 000000009BF4: D3D8401D 180001A9
	v_mul_f32_e32 v28, s47, v28                                // 000000009BFC: 0A38382F
	v_mul_f32_e32 v29, s47, v29                                // 000000009C00: 0A3A3A2F
	v_cvt_pkrtz_f16_f32 v52, v28, v29                          // 000000009C04: D2960034 00023B1C
	v_accvgpr_read_b32 v28, a170                               // 000000009C0C: D3D8401C 180001AA
	v_accvgpr_read_b32 v29, a171                               // 000000009C14: D3D8401D 180001AB
	v_mul_f32_e32 v28, s47, v28                                // 000000009C1C: 0A38382F
	v_mul_f32_e32 v29, s47, v29                                // 000000009C20: 0A3A3A2F
	v_cvt_pkrtz_f16_f32 v53, v28, v29                          // 000000009C24: D2960035 00023B1C
	v_accvgpr_read_b32 v28, a172                               // 000000009C2C: D3D8401C 180001AC
	v_accvgpr_read_b32 v29, a173                               // 000000009C34: D3D8401D 180001AD
	v_mul_f32_e32 v28, s47, v28                                // 000000009C3C: 0A38382F
	v_mul_f32_e32 v29, s47, v29                                // 000000009C40: 0A3A3A2F
	v_cvt_pkrtz_f16_f32 v54, v28, v29                          // 000000009C44: D2960036 00023B1C
	v_accvgpr_read_b32 v28, a174                               // 000000009C4C: D3D8401C 180001AE
	v_accvgpr_read_b32 v29, a175                               // 000000009C54: D3D8401D 180001AF
	v_mul_f32_e32 v28, s47, v28                                // 000000009C5C: 0A38382F
	v_mul_f32_e32 v29, s47, v29                                // 000000009C60: 0A3A3A2F
	v_cvt_pkrtz_f16_f32 v55, v28, v29                          // 000000009C64: D2960037 00023B1C
	v_accvgpr_read_b32 v28, a176                               // 000000009C6C: D3D8401C 180001B0
	v_accvgpr_read_b32 v29, a177                               // 000000009C74: D3D8401D 180001B1
	v_mul_f32_e32 v28, s47, v28                                // 000000009C7C: 0A38382F
	v_mul_f32_e32 v29, s47, v29                                // 000000009C80: 0A3A3A2F
	v_cvt_pkrtz_f16_f32 v56, v28, v29                          // 000000009C84: D2960038 00023B1C
	v_accvgpr_read_b32 v28, a178                               // 000000009C8C: D3D8401C 180001B2
	v_accvgpr_read_b32 v29, a179                               // 000000009C94: D3D8401D 180001B3
	v_mul_f32_e32 v28, s47, v28                                // 000000009C9C: 0A38382F
	v_mul_f32_e32 v29, s47, v29                                // 000000009CA0: 0A3A3A2F
	v_cvt_pkrtz_f16_f32 v57, v28, v29                          // 000000009CA4: D2960039 00023B1C
	v_accvgpr_read_b32 v28, a180                               // 000000009CAC: D3D8401C 180001B4
	v_accvgpr_read_b32 v29, a181                               // 000000009CB4: D3D8401D 180001B5
	v_mul_f32_e32 v28, s47, v28                                // 000000009CBC: 0A38382F
	v_mul_f32_e32 v29, s47, v29                                // 000000009CC0: 0A3A3A2F
	v_cvt_pkrtz_f16_f32 v58, v28, v29                          // 000000009CC4: D296003A 00023B1C
	v_accvgpr_read_b32 v28, a182                               // 000000009CCC: D3D8401C 180001B6
	v_accvgpr_read_b32 v29, a183                               // 000000009CD4: D3D8401D 180001B7
	v_mul_f32_e32 v28, s47, v28                                // 000000009CDC: 0A38382F
	v_mul_f32_e32 v29, s47, v29                                // 000000009CE0: 0A3A3A2F
	v_cvt_pkrtz_f16_f32 v59, v28, v29                          // 000000009CE4: D296003B 00023B1C
	v_accvgpr_read_b32 v28, a184                               // 000000009CEC: D3D8401C 180001B8
	v_accvgpr_read_b32 v29, a185                               // 000000009CF4: D3D8401D 180001B9
	v_mul_f32_e32 v28, s47, v28                                // 000000009CFC: 0A38382F
	v_mul_f32_e32 v29, s47, v29                                // 000000009D00: 0A3A3A2F
	v_cvt_pkrtz_f16_f32 v60, v28, v29                          // 000000009D04: D296003C 00023B1C
	v_accvgpr_read_b32 v28, a186                               // 000000009D0C: D3D8401C 180001BA
	v_accvgpr_read_b32 v29, a187                               // 000000009D14: D3D8401D 180001BB
	v_mul_f32_e32 v28, s47, v28                                // 000000009D1C: 0A38382F
	v_mul_f32_e32 v29, s47, v29                                // 000000009D20: 0A3A3A2F
	v_cvt_pkrtz_f16_f32 v61, v28, v29                          // 000000009D24: D296003D 00023B1C
	v_accvgpr_read_b32 v28, a188                               // 000000009D2C: D3D8401C 180001BC
	v_accvgpr_read_b32 v29, a189                               // 000000009D34: D3D8401D 180001BD
	v_mul_f32_e32 v28, s47, v28                                // 000000009D3C: 0A38382F
	v_mul_f32_e32 v29, s47, v29                                // 000000009D40: 0A3A3A2F
	v_cvt_pkrtz_f16_f32 v62, v28, v29                          // 000000009D44: D296003E 00023B1C
	v_accvgpr_read_b32 v28, a190                               // 000000009D4C: D3D8401C 180001BE
	v_accvgpr_read_b32 v29, a191                               // 000000009D54: D3D8401D 180001BF
	v_mul_f32_e32 v28, s47, v28                                // 000000009D5C: 0A38382F
	v_mul_f32_e32 v29, s47, v29                                // 000000009D60: 0A3A3A2F
	v_cvt_pkrtz_f16_f32 v63, v28, v29                          // 000000009D64: D296003F 00023B1C
	ds_write_b64 v25, v[48:49]                                 // 000000009D6C: D89A0000 00003019
	ds_write_b64 v25, v[50:51] offset:528                      // 000000009D74: D89A0210 00003219
	ds_write_b64 v25, v[52:53] offset:1056                     // 000000009D7C: D89A0420 00003419
	ds_write_b64 v25, v[54:55] offset:1584                     // 000000009D84: D89A0630 00003619
	ds_write_b64 v25, v[56:57] offset:2112                     // 000000009D8C: D89A0840 00003819
	ds_write_b64 v25, v[58:59] offset:2640                     // 000000009D94: D89A0A50 00003A19
	ds_write_b64 v25, v[60:61] offset:3168                     // 000000009D9C: D89A0C60 00003C19
	ds_write_b64 v25, v[62:63] offset:3696                     // 000000009DA4: D89A0E70 00003E19
	s_waitcnt lgkmcnt(0)                                       // 000000009DAC: BF8CC07F
	s_barrier                                                  // 000000009DB0: BF8A0000
	ds_read_b64 v[48:49], v24                                  // 000000009DB4: D8EC0000 30000018
	ds_read_b64 v[50:51], v24 offset:128                       // 000000009DBC: D8EC0080 32000018
	ds_read_b64 v[52:53], v24 offset:32                        // 000000009DC4: D8EC0020 34000018
	ds_read_b64 v[54:55], v24 offset:160                       // 000000009DCC: D8EC00A0 36000018
	ds_read_b64 v[56:57], v24 offset:64                        // 000000009DD4: D8EC0040 38000018
	ds_read_b64 v[58:59], v24 offset:192                       // 000000009DDC: D8EC00C0 3A000018
	ds_read_b64 v[60:61], v24 offset:96                        // 000000009DE4: D8EC0060 3C000018
	ds_read_b64 v[62:63], v24 offset:224                       // 000000009DEC: D8EC00E0 3E000018
	s_waitcnt lgkmcnt(0)                                       // 000000009DF4: BF8CC07F
	s_mov_b32 s70, s52                                         // 000000009DF8: BEC60034
	s_mov_b64 exec, s[80:81]                                   // 000000009DFC: BEFE0150
	buffer_store_dwordx4 v[48:51], v5, s[36:39], 0 idxen       // 000000009E00: E07C2000 80093005
	s_mov_b32 exec_lo, -1                                      // 000000009E08: BEFE00C1
	s_mov_b32 exec_hi, -1                                      // 000000009E0C: BEFF00C1
	v_add_u32_e32 v5, s70, v5                                  // 000000009E10: 680A0A46
	s_mov_b64 exec, s[80:81]                                   // 000000009E14: BEFE0150
	buffer_store_dwordx4 v[52:55], v5, s[36:39], 0 idxen       // 000000009E18: E07C2000 80093405
	s_mov_b32 exec_lo, -1                                      // 000000009E20: BEFE00C1
	s_mov_b32 exec_hi, -1                                      // 000000009E24: BEFF00C1
	v_add_u32_e32 v5, s70, v5                                  // 000000009E28: 680A0A46
	s_mov_b64 exec, s[80:81]                                   // 000000009E2C: BEFE0150
	buffer_store_dwordx4 v[56:59], v5, s[36:39], 0 idxen       // 000000009E30: E07C2000 80093805
	s_mov_b32 exec_lo, -1                                      // 000000009E38: BEFE00C1
	s_mov_b32 exec_hi, -1                                      // 000000009E3C: BEFF00C1
	v_add_u32_e32 v5, s70, v5                                  // 000000009E40: 680A0A46
	s_mov_b64 exec, s[80:81]                                   // 000000009E44: BEFE0150
	buffer_store_dwordx4 v[60:63], v5, s[36:39], 0 idxen       // 000000009E48: E07C2000 80093C05
	s_mov_b32 exec_lo, -1                                      // 000000009E50: BEFE00C1
	s_mov_b32 exec_hi, -1                                      // 000000009E54: BEFF00C1
	v_add_u32_e32 v5, s70, v5                                  // 000000009E58: 680A0A46
	s_mul_i32 s60, 12, s70                                     // 000000009E5C: 923C468C
	v_add_u32_e32 v5, s60, v5                                  // 000000009E60: 680A0A3C
	s_barrier                                                  // 000000009E64: BF8A0000
	s_cmp_ge_i32 1, s72                                        // 000000009E68: BF034881
	s_cbranch_scc1 label_19B2                                  // 000000009E6C: BF850182
	v_accvgpr_read_b32 v28, a192                               // 000000009E70: D3D8401C 180001C0
	v_accvgpr_read_b32 v29, a193                               // 000000009E78: D3D8401D 180001C1
	v_mul_f32_e32 v28, s47, v28                                // 000000009E80: 0A38382F
	v_mul_f32_e32 v29, s47, v29                                // 000000009E84: 0A3A3A2F
	v_cvt_pkrtz_f16_f32 v64, v28, v29                          // 000000009E88: D2960040 00023B1C
	v_accvgpr_read_b32 v28, a194                               // 000000009E90: D3D8401C 180001C2
	v_accvgpr_read_b32 v29, a195                               // 000000009E98: D3D8401D 180001C3
	v_mul_f32_e32 v28, s47, v28                                // 000000009EA0: 0A38382F
	v_mul_f32_e32 v29, s47, v29                                // 000000009EA4: 0A3A3A2F
	v_cvt_pkrtz_f16_f32 v65, v28, v29                          // 000000009EA8: D2960041 00023B1C
	v_accvgpr_read_b32 v28, a196                               // 000000009EB0: D3D8401C 180001C4
	v_accvgpr_read_b32 v29, a197                               // 000000009EB8: D3D8401D 180001C5
	v_mul_f32_e32 v28, s47, v28                                // 000000009EC0: 0A38382F
	v_mul_f32_e32 v29, s47, v29                                // 000000009EC4: 0A3A3A2F
	v_cvt_pkrtz_f16_f32 v66, v28, v29                          // 000000009EC8: D2960042 00023B1C
	v_accvgpr_read_b32 v28, a198                               // 000000009ED0: D3D8401C 180001C6
	v_accvgpr_read_b32 v29, a199                               // 000000009ED8: D3D8401D 180001C7
	v_mul_f32_e32 v28, s47, v28                                // 000000009EE0: 0A38382F
	v_mul_f32_e32 v29, s47, v29                                // 000000009EE4: 0A3A3A2F
	v_cvt_pkrtz_f16_f32 v67, v28, v29                          // 000000009EE8: D2960043 00023B1C
	v_accvgpr_read_b32 v28, a200                               // 000000009EF0: D3D8401C 180001C8
	v_accvgpr_read_b32 v29, a201                               // 000000009EF8: D3D8401D 180001C9
	v_mul_f32_e32 v28, s47, v28                                // 000000009F00: 0A38382F
	v_mul_f32_e32 v29, s47, v29                                // 000000009F04: 0A3A3A2F
	v_cvt_pkrtz_f16_f32 v68, v28, v29                          // 000000009F08: D2960044 00023B1C
	v_accvgpr_read_b32 v28, a202                               // 000000009F10: D3D8401C 180001CA
	v_accvgpr_read_b32 v29, a203                               // 000000009F18: D3D8401D 180001CB
	v_mul_f32_e32 v28, s47, v28                                // 000000009F20: 0A38382F
	v_mul_f32_e32 v29, s47, v29                                // 000000009F24: 0A3A3A2F
	v_cvt_pkrtz_f16_f32 v69, v28, v29                          // 000000009F28: D2960045 00023B1C
	v_accvgpr_read_b32 v28, a204                               // 000000009F30: D3D8401C 180001CC
	v_accvgpr_read_b32 v29, a205                               // 000000009F38: D3D8401D 180001CD
	v_mul_f32_e32 v28, s47, v28                                // 000000009F40: 0A38382F
	v_mul_f32_e32 v29, s47, v29                                // 000000009F44: 0A3A3A2F
	v_cvt_pkrtz_f16_f32 v70, v28, v29                          // 000000009F48: D2960046 00023B1C
	v_accvgpr_read_b32 v28, a206                               // 000000009F50: D3D8401C 180001CE
	v_accvgpr_read_b32 v29, a207                               // 000000009F58: D3D8401D 180001CF
	v_mul_f32_e32 v28, s47, v28                                // 000000009F60: 0A38382F
	v_mul_f32_e32 v29, s47, v29                                // 000000009F64: 0A3A3A2F
	v_cvt_pkrtz_f16_f32 v71, v28, v29                          // 000000009F68: D2960047 00023B1C
	v_accvgpr_read_b32 v28, a208                               // 000000009F70: D3D8401C 180001D0
	v_accvgpr_read_b32 v29, a209                               // 000000009F78: D3D8401D 180001D1
	v_mul_f32_e32 v28, s47, v28                                // 000000009F80: 0A38382F
	v_mul_f32_e32 v29, s47, v29                                // 000000009F84: 0A3A3A2F
	v_cvt_pkrtz_f16_f32 v72, v28, v29                          // 000000009F88: D2960048 00023B1C
	v_accvgpr_read_b32 v28, a210                               // 000000009F90: D3D8401C 180001D2
	v_accvgpr_read_b32 v29, a211                               // 000000009F98: D3D8401D 180001D3
	v_mul_f32_e32 v28, s47, v28                                // 000000009FA0: 0A38382F
	v_mul_f32_e32 v29, s47, v29                                // 000000009FA4: 0A3A3A2F
	v_cvt_pkrtz_f16_f32 v73, v28, v29                          // 000000009FA8: D2960049 00023B1C
	v_accvgpr_read_b32 v28, a212                               // 000000009FB0: D3D8401C 180001D4
	v_accvgpr_read_b32 v29, a213                               // 000000009FB8: D3D8401D 180001D5
	v_mul_f32_e32 v28, s47, v28                                // 000000009FC0: 0A38382F
	v_mul_f32_e32 v29, s47, v29                                // 000000009FC4: 0A3A3A2F
	v_cvt_pkrtz_f16_f32 v74, v28, v29                          // 000000009FC8: D296004A 00023B1C
	v_accvgpr_read_b32 v28, a214                               // 000000009FD0: D3D8401C 180001D6
	v_accvgpr_read_b32 v29, a215                               // 000000009FD8: D3D8401D 180001D7
	v_mul_f32_e32 v28, s47, v28                                // 000000009FE0: 0A38382F
	v_mul_f32_e32 v29, s47, v29                                // 000000009FE4: 0A3A3A2F
	v_cvt_pkrtz_f16_f32 v75, v28, v29                          // 000000009FE8: D296004B 00023B1C
	v_accvgpr_read_b32 v28, a216                               // 000000009FF0: D3D8401C 180001D8
	v_accvgpr_read_b32 v29, a217                               // 000000009FF8: D3D8401D 180001D9
	v_mul_f32_e32 v28, s47, v28                                // 00000000A000: 0A38382F
	v_mul_f32_e32 v29, s47, v29                                // 00000000A004: 0A3A3A2F
	v_cvt_pkrtz_f16_f32 v76, v28, v29                          // 00000000A008: D296004C 00023B1C
	v_accvgpr_read_b32 v28, a218                               // 00000000A010: D3D8401C 180001DA
	v_accvgpr_read_b32 v29, a219                               // 00000000A018: D3D8401D 180001DB
	v_mul_f32_e32 v28, s47, v28                                // 00000000A020: 0A38382F
	v_mul_f32_e32 v29, s47, v29                                // 00000000A024: 0A3A3A2F
	v_cvt_pkrtz_f16_f32 v77, v28, v29                          // 00000000A028: D296004D 00023B1C
	v_accvgpr_read_b32 v28, a220                               // 00000000A030: D3D8401C 180001DC
	v_accvgpr_read_b32 v29, a221                               // 00000000A038: D3D8401D 180001DD
	v_mul_f32_e32 v28, s47, v28                                // 00000000A040: 0A38382F
	v_mul_f32_e32 v29, s47, v29                                // 00000000A044: 0A3A3A2F
	v_cvt_pkrtz_f16_f32 v78, v28, v29                          // 00000000A048: D296004E 00023B1C
	v_accvgpr_read_b32 v28, a222                               // 00000000A050: D3D8401C 180001DE
	v_accvgpr_read_b32 v29, a223                               // 00000000A058: D3D8401D 180001DF
	v_mul_f32_e32 v28, s47, v28                                // 00000000A060: 0A38382F
	v_mul_f32_e32 v29, s47, v29                                // 00000000A064: 0A3A3A2F
	v_cvt_pkrtz_f16_f32 v79, v28, v29                          // 00000000A068: D296004F 00023B1C
	ds_write_b64 v25, v[64:65] offset:16896                    // 00000000A070: D89A4200 00004019
	ds_write_b64 v25, v[66:67] offset:17424                    // 00000000A078: D89A4410 00004219
	ds_write_b64 v25, v[68:69] offset:17952                    // 00000000A080: D89A4620 00004419
	ds_write_b64 v25, v[70:71] offset:18480                    // 00000000A088: D89A4830 00004619
	ds_write_b64 v25, v[72:73] offset:19008                    // 00000000A090: D89A4A40 00004819
	ds_write_b64 v25, v[74:75] offset:19536                    // 00000000A098: D89A4C50 00004A19
	ds_write_b64 v25, v[76:77] offset:20064                    // 00000000A0A0: D89A4E60 00004C19
	ds_write_b64 v25, v[78:79] offset:20592                    // 00000000A0A8: D89A5070 00004E19
	s_waitcnt lgkmcnt(0)                                       // 00000000A0B0: BF8CC07F
	s_barrier                                                  // 00000000A0B4: BF8A0000
	ds_read_b64 v[64:65], v24 offset:16896                     // 00000000A0B8: D8EC4200 40000018
	ds_read_b64 v[66:67], v24 offset:17024                     // 00000000A0C0: D8EC4280 42000018
	ds_read_b64 v[68:69], v24 offset:16928                     // 00000000A0C8: D8EC4220 44000018
	ds_read_b64 v[70:71], v24 offset:17056                     // 00000000A0D0: D8EC42A0 46000018
	ds_read_b64 v[72:73], v24 offset:16960                     // 00000000A0D8: D8EC4240 48000018
	ds_read_b64 v[74:75], v24 offset:17088                     // 00000000A0E0: D8EC42C0 4A000018
	ds_read_b64 v[76:77], v24 offset:16992                     // 00000000A0E8: D8EC4260 4C000018
	ds_read_b64 v[78:79], v24 offset:17120                     // 00000000A0F0: D8EC42E0 4E000018
	s_waitcnt lgkmcnt(0)                                       // 00000000A0F8: BF8CC07F
	s_mov_b32 s70, s52                                         // 00000000A0FC: BEC60034
	s_mov_b64 exec, s[80:81]                                   // 00000000A100: BEFE0150
	buffer_store_dwordx4 v[64:67], v5, s[36:39], 0 idxen       // 00000000A104: E07C2000 80094005
	s_mov_b32 exec_lo, -1                                      // 00000000A10C: BEFE00C1
	s_mov_b32 exec_hi, -1                                      // 00000000A110: BEFF00C1
	v_add_u32_e32 v5, s70, v5                                  // 00000000A114: 680A0A46
	s_mov_b64 exec, s[80:81]                                   // 00000000A118: BEFE0150
	buffer_store_dwordx4 v[68:71], v5, s[36:39], 0 idxen       // 00000000A11C: E07C2000 80094405
	s_mov_b32 exec_lo, -1                                      // 00000000A124: BEFE00C1
	s_mov_b32 exec_hi, -1                                      // 00000000A128: BEFF00C1
	v_add_u32_e32 v5, s70, v5                                  // 00000000A12C: 680A0A46
	s_mov_b64 exec, s[80:81]                                   // 00000000A130: BEFE0150
	buffer_store_dwordx4 v[72:75], v5, s[36:39], 0 idxen       // 00000000A134: E07C2000 80094805
	s_mov_b32 exec_lo, -1                                      // 00000000A13C: BEFE00C1
	s_mov_b32 exec_hi, -1                                      // 00000000A140: BEFF00C1
	v_add_u32_e32 v5, s70, v5                                  // 00000000A144: 680A0A46
	s_mov_b64 exec, s[80:81]                                   // 00000000A148: BEFE0150
	buffer_store_dwordx4 v[76:79], v5, s[36:39], 0 idxen       // 00000000A14C: E07C2000 80094C05
	s_mov_b32 exec_lo, -1                                      // 00000000A154: BEFE00C1
	s_mov_b32 exec_hi, -1                                      // 00000000A158: BEFF00C1
	v_add_u32_e32 v5, s70, v5                                  // 00000000A15C: 680A0A46
	s_mul_i32 s60, 12, s70                                     // 00000000A160: 923C468C
	v_add_u32_e32 v5, s60, v5                                  // 00000000A164: 680A0A3C
	s_barrier                                                  // 00000000A168: BF8A0000
	s_cmp_ge_i32 2, s72                                        // 00000000A16C: BF034882
	s_cbranch_scc1 label_19B2                                  // 00000000A170: BF8500C1
	v_accvgpr_read_b32 v28, a224                               // 00000000A174: D3D8401C 180001E0
	v_accvgpr_read_b32 v29, a225                               // 00000000A17C: D3D8401D 180001E1
	v_mul_f32_e32 v28, s47, v28                                // 00000000A184: 0A38382F
	v_mul_f32_e32 v29, s47, v29                                // 00000000A188: 0A3A3A2F
	v_cvt_pkrtz_f16_f32 v80, v28, v29                          // 00000000A18C: D2960050 00023B1C
	v_accvgpr_read_b32 v28, a226                               // 00000000A194: D3D8401C 180001E2
	v_accvgpr_read_b32 v29, a227                               // 00000000A19C: D3D8401D 180001E3
	v_mul_f32_e32 v28, s47, v28                                // 00000000A1A4: 0A38382F
	v_mul_f32_e32 v29, s47, v29                                // 00000000A1A8: 0A3A3A2F
	v_cvt_pkrtz_f16_f32 v81, v28, v29                          // 00000000A1AC: D2960051 00023B1C
	v_accvgpr_read_b32 v28, a228                               // 00000000A1B4: D3D8401C 180001E4
	v_accvgpr_read_b32 v29, a229                               // 00000000A1BC: D3D8401D 180001E5
	v_mul_f32_e32 v28, s47, v28                                // 00000000A1C4: 0A38382F
	v_mul_f32_e32 v29, s47, v29                                // 00000000A1C8: 0A3A3A2F
	v_cvt_pkrtz_f16_f32 v82, v28, v29                          // 00000000A1CC: D2960052 00023B1C
	v_accvgpr_read_b32 v28, a230                               // 00000000A1D4: D3D8401C 180001E6
	v_accvgpr_read_b32 v29, a231                               // 00000000A1DC: D3D8401D 180001E7
	v_mul_f32_e32 v28, s47, v28                                // 00000000A1E4: 0A38382F
	v_mul_f32_e32 v29, s47, v29                                // 00000000A1E8: 0A3A3A2F
	v_cvt_pkrtz_f16_f32 v83, v28, v29                          // 00000000A1EC: D2960053 00023B1C
	v_accvgpr_read_b32 v28, a232                               // 00000000A1F4: D3D8401C 180001E8
	v_accvgpr_read_b32 v29, a233                               // 00000000A1FC: D3D8401D 180001E9
	v_mul_f32_e32 v28, s47, v28                                // 00000000A204: 0A38382F
	v_mul_f32_e32 v29, s47, v29                                // 00000000A208: 0A3A3A2F
	v_cvt_pkrtz_f16_f32 v84, v28, v29                          // 00000000A20C: D2960054 00023B1C
	v_accvgpr_read_b32 v28, a234                               // 00000000A214: D3D8401C 180001EA
	v_accvgpr_read_b32 v29, a235                               // 00000000A21C: D3D8401D 180001EB
	v_mul_f32_e32 v28, s47, v28                                // 00000000A224: 0A38382F
	v_mul_f32_e32 v29, s47, v29                                // 00000000A228: 0A3A3A2F
	v_cvt_pkrtz_f16_f32 v85, v28, v29                          // 00000000A22C: D2960055 00023B1C
	v_accvgpr_read_b32 v28, a236                               // 00000000A234: D3D8401C 180001EC
	v_accvgpr_read_b32 v29, a237                               // 00000000A23C: D3D8401D 180001ED
	v_mul_f32_e32 v28, s47, v28                                // 00000000A244: 0A38382F
	v_mul_f32_e32 v29, s47, v29                                // 00000000A248: 0A3A3A2F
	v_cvt_pkrtz_f16_f32 v86, v28, v29                          // 00000000A24C: D2960056 00023B1C
	v_accvgpr_read_b32 v28, a238                               // 00000000A254: D3D8401C 180001EE
	v_accvgpr_read_b32 v29, a239                               // 00000000A25C: D3D8401D 180001EF
	v_mul_f32_e32 v28, s47, v28                                // 00000000A264: 0A38382F
	v_mul_f32_e32 v29, s47, v29                                // 00000000A268: 0A3A3A2F
	v_cvt_pkrtz_f16_f32 v87, v28, v29                          // 00000000A26C: D2960057 00023B1C
	v_accvgpr_read_b32 v28, a240                               // 00000000A274: D3D8401C 180001F0
	v_accvgpr_read_b32 v29, a241                               // 00000000A27C: D3D8401D 180001F1
	v_mul_f32_e32 v28, s47, v28                                // 00000000A284: 0A38382F
	v_mul_f32_e32 v29, s47, v29                                // 00000000A288: 0A3A3A2F
	v_cvt_pkrtz_f16_f32 v88, v28, v29                          // 00000000A28C: D2960058 00023B1C
	v_accvgpr_read_b32 v28, a242                               // 00000000A294: D3D8401C 180001F2
	v_accvgpr_read_b32 v29, a243                               // 00000000A29C: D3D8401D 180001F3
	v_mul_f32_e32 v28, s47, v28                                // 00000000A2A4: 0A38382F
	v_mul_f32_e32 v29, s47, v29                                // 00000000A2A8: 0A3A3A2F
	v_cvt_pkrtz_f16_f32 v89, v28, v29                          // 00000000A2AC: D2960059 00023B1C
	v_accvgpr_read_b32 v28, a244                               // 00000000A2B4: D3D8401C 180001F4
	v_accvgpr_read_b32 v29, a245                               // 00000000A2BC: D3D8401D 180001F5
	v_mul_f32_e32 v28, s47, v28                                // 00000000A2C4: 0A38382F
	v_mul_f32_e32 v29, s47, v29                                // 00000000A2C8: 0A3A3A2F
	v_cvt_pkrtz_f16_f32 v90, v28, v29                          // 00000000A2CC: D296005A 00023B1C
	v_accvgpr_read_b32 v28, a246                               // 00000000A2D4: D3D8401C 180001F6
	v_accvgpr_read_b32 v29, a247                               // 00000000A2DC: D3D8401D 180001F7
	v_mul_f32_e32 v28, s47, v28                                // 00000000A2E4: 0A38382F
	v_mul_f32_e32 v29, s47, v29                                // 00000000A2E8: 0A3A3A2F
	v_cvt_pkrtz_f16_f32 v91, v28, v29                          // 00000000A2EC: D296005B 00023B1C
	v_accvgpr_read_b32 v28, a248                               // 00000000A2F4: D3D8401C 180001F8
	v_accvgpr_read_b32 v29, a249                               // 00000000A2FC: D3D8401D 180001F9
	v_mul_f32_e32 v28, s47, v28                                // 00000000A304: 0A38382F
	v_mul_f32_e32 v29, s47, v29                                // 00000000A308: 0A3A3A2F
	v_cvt_pkrtz_f16_f32 v92, v28, v29                          // 00000000A30C: D296005C 00023B1C
	v_accvgpr_read_b32 v28, a250                               // 00000000A314: D3D8401C 180001FA
	v_accvgpr_read_b32 v29, a251                               // 00000000A31C: D3D8401D 180001FB
	v_mul_f32_e32 v28, s47, v28                                // 00000000A324: 0A38382F
	v_mul_f32_e32 v29, s47, v29                                // 00000000A328: 0A3A3A2F
	v_cvt_pkrtz_f16_f32 v93, v28, v29                          // 00000000A32C: D296005D 00023B1C
	v_accvgpr_read_b32 v28, a252                               // 00000000A334: D3D8401C 180001FC
	v_accvgpr_read_b32 v29, a253                               // 00000000A33C: D3D8401D 180001FD
	v_mul_f32_e32 v28, s47, v28                                // 00000000A344: 0A38382F
	v_mul_f32_e32 v29, s47, v29                                // 00000000A348: 0A3A3A2F
	v_cvt_pkrtz_f16_f32 v94, v28, v29                          // 00000000A34C: D296005E 00023B1C
	v_accvgpr_read_b32 v28, a254                               // 00000000A354: D3D8401C 180001FE
	v_accvgpr_read_b32 v29, a255                               // 00000000A35C: D3D8401D 180001FF
	v_mul_f32_e32 v28, s47, v28                                // 00000000A364: 0A38382F
	v_mul_f32_e32 v29, s47, v29                                // 00000000A368: 0A3A3A2F
	v_cvt_pkrtz_f16_f32 v95, v28, v29                          // 00000000A36C: D296005F 00023B1C
	ds_write_b64 v25, v[80:81] offset:33792                    // 00000000A374: D89A8400 00005019
	ds_write_b64 v25, v[82:83] offset:34320                    // 00000000A37C: D89A8610 00005219
	ds_write_b64 v25, v[84:85] offset:34848                    // 00000000A384: D89A8820 00005419
	ds_write_b64 v25, v[86:87] offset:35376                    // 00000000A38C: D89A8A30 00005619
	ds_write_b64 v25, v[88:89] offset:35904                    // 00000000A394: D89A8C40 00005819
	ds_write_b64 v25, v[90:91] offset:36432                    // 00000000A39C: D89A8E50 00005A19
	ds_write_b64 v25, v[92:93] offset:36960                    // 00000000A3A4: D89A9060 00005C19
	ds_write_b64 v25, v[94:95] offset:37488                    // 00000000A3AC: D89A9270 00005E19
	s_waitcnt lgkmcnt(0)                                       // 00000000A3B4: BF8CC07F
	s_barrier                                                  // 00000000A3B8: BF8A0000
	ds_read_b64 v[80:81], v24 offset:33792                     // 00000000A3BC: D8EC8400 50000018
	ds_read_b64 v[82:83], v24 offset:33920                     // 00000000A3C4: D8EC8480 52000018
	ds_read_b64 v[84:85], v24 offset:33824                     // 00000000A3CC: D8EC8420 54000018
	ds_read_b64 v[86:87], v24 offset:33952                     // 00000000A3D4: D8EC84A0 56000018
	ds_read_b64 v[88:89], v24 offset:33856                     // 00000000A3DC: D8EC8440 58000018
	ds_read_b64 v[90:91], v24 offset:33984                     // 00000000A3E4: D8EC84C0 5A000018
	ds_read_b64 v[92:93], v24 offset:33888                     // 00000000A3EC: D8EC8460 5C000018
	ds_read_b64 v[94:95], v24 offset:34016                     // 00000000A3F4: D8EC84E0 5E000018
	s_waitcnt lgkmcnt(0)                                       // 00000000A3FC: BF8CC07F
	s_mov_b32 s70, s52                                         // 00000000A400: BEC60034
	s_mov_b64 exec, s[80:81]                                   // 00000000A404: BEFE0150
	buffer_store_dwordx4 v[80:83], v5, s[36:39], 0 idxen       // 00000000A408: E07C2000 80095005
	s_mov_b32 exec_lo, -1                                      // 00000000A410: BEFE00C1
	s_mov_b32 exec_hi, -1                                      // 00000000A414: BEFF00C1
	v_add_u32_e32 v5, s70, v5                                  // 00000000A418: 680A0A46
	s_mov_b64 exec, s[80:81]                                   // 00000000A41C: BEFE0150
	buffer_store_dwordx4 v[84:87], v5, s[36:39], 0 idxen       // 00000000A420: E07C2000 80095405
	s_mov_b32 exec_lo, -1                                      // 00000000A428: BEFE00C1
	s_mov_b32 exec_hi, -1                                      // 00000000A42C: BEFF00C1
	v_add_u32_e32 v5, s70, v5                                  // 00000000A430: 680A0A46
	s_mov_b64 exec, s[80:81]                                   // 00000000A434: BEFE0150
	buffer_store_dwordx4 v[88:91], v5, s[36:39], 0 idxen       // 00000000A438: E07C2000 80095805
	s_mov_b32 exec_lo, -1                                      // 00000000A440: BEFE00C1
	s_mov_b32 exec_hi, -1                                      // 00000000A444: BEFF00C1
	v_add_u32_e32 v5, s70, v5                                  // 00000000A448: 680A0A46
	s_mov_b64 exec, s[80:81]                                   // 00000000A44C: BEFE0150
	buffer_store_dwordx4 v[92:95], v5, s[36:39], 0 idxen       // 00000000A450: E07C2000 80095C05
	s_mov_b32 exec_lo, -1                                      // 00000000A458: BEFE00C1
	s_mov_b32 exec_hi, -1                                      // 00000000A45C: BEFF00C1
	v_add_u32_e32 v5, s70, v5                                  // 00000000A460: 680A0A46
	s_mul_i32 s60, 12, s70                                     // 00000000A464: 923C468C
	v_add_u32_e32 v5, s60, v5                                  // 00000000A468: 680A0A3C
	s_barrier                                                  // 00000000A46C: BF8A0000
	s_cmp_ge_i32 3, s72                                        // 00000000A470: BF034883
	s_cbranch_scc1 label_19B2                                  // 00000000A474: BF850000

000000000000a478 <label_19B2>:
	v_mov_b32_e32 v28, v152                                    // 00000000A478: 7E380398
	v_mov_b32_e32 v29, v153                                    // 00000000A47C: 7E3A0399
	v_cvt_pkrtz_f16_f32 v152, v28, v29                         // 00000000A480: D2960098 00023B1C
	v_mov_b32_e32 v28, v154                                    // 00000000A488: 7E38039A
	v_mov_b32_e32 v29, v155                                    // 00000000A48C: 7E3A039B
	v_cvt_pkrtz_f16_f32 v153, v28, v29                         // 00000000A490: D2960099 00023B1C
	v_mov_b32_e32 v28, v156                                    // 00000000A498: 7E38039C
	v_mov_b32_e32 v29, v157                                    // 00000000A49C: 7E3A039D
	v_cvt_pkrtz_f16_f32 v154, v28, v29                         // 00000000A4A0: D296009A 00023B1C
	v_mov_b32_e32 v28, v158                                    // 00000000A4A8: 7E38039E
	v_mov_b32_e32 v29, v159                                    // 00000000A4AC: 7E3A039F
	v_cvt_pkrtz_f16_f32 v155, v28, v29                         // 00000000A4B0: D296009B 00023B1C
	v_mov_b32_e32 v28, v160                                    // 00000000A4B8: 7E3803A0
	v_mov_b32_e32 v29, v161                                    // 00000000A4BC: 7E3A03A1
	v_cvt_pkrtz_f16_f32 v156, v28, v29                         // 00000000A4C0: D296009C 00023B1C
	v_mov_b32_e32 v28, v162                                    // 00000000A4C8: 7E3803A2
	v_mov_b32_e32 v29, v163                                    // 00000000A4CC: 7E3A03A3
	v_cvt_pkrtz_f16_f32 v157, v28, v29                         // 00000000A4D0: D296009D 00023B1C
	v_mov_b32_e32 v28, v164                                    // 00000000A4D8: 7E3803A4
	v_mov_b32_e32 v29, v165                                    // 00000000A4DC: 7E3A03A5
	v_cvt_pkrtz_f16_f32 v158, v28, v29                         // 00000000A4E0: D296009E 00023B1C
	v_mov_b32_e32 v28, v166                                    // 00000000A4E8: 7E3803A6
	v_mov_b32_e32 v29, v167                                    // 00000000A4EC: 7E3A03A7
	v_cvt_pkrtz_f16_f32 v159, v28, v29                         // 00000000A4F0: D296009F 00023B1C
	v_mov_b32_e32 v28, v168                                    // 00000000A4F8: 7E3803A8
	v_mov_b32_e32 v29, v169                                    // 00000000A4FC: 7E3A03A9
	v_cvt_pkrtz_f16_f32 v160, v28, v29                         // 00000000A500: D29600A0 00023B1C
	v_mov_b32_e32 v28, v170                                    // 00000000A508: 7E3803AA
	v_mov_b32_e32 v29, v171                                    // 00000000A50C: 7E3A03AB
	v_cvt_pkrtz_f16_f32 v161, v28, v29                         // 00000000A510: D29600A1 00023B1C
	v_mov_b32_e32 v28, v172                                    // 00000000A518: 7E3803AC
	v_mov_b32_e32 v29, v173                                    // 00000000A51C: 7E3A03AD
	v_cvt_pkrtz_f16_f32 v162, v28, v29                         // 00000000A520: D29600A2 00023B1C
	v_mov_b32_e32 v28, v174                                    // 00000000A528: 7E3803AE
	v_mov_b32_e32 v29, v175                                    // 00000000A52C: 7E3A03AF
	v_cvt_pkrtz_f16_f32 v163, v28, v29                         // 00000000A530: D29600A3 00023B1C
	v_mov_b32_e32 v28, v176                                    // 00000000A538: 7E3803B0
	v_mov_b32_e32 v29, v177                                    // 00000000A53C: 7E3A03B1
	v_cvt_pkrtz_f16_f32 v164, v28, v29                         // 00000000A540: D29600A4 00023B1C
	v_mov_b32_e32 v28, v178                                    // 00000000A548: 7E3803B2
	v_mov_b32_e32 v29, v179                                    // 00000000A54C: 7E3A03B3
	v_cvt_pkrtz_f16_f32 v165, v28, v29                         // 00000000A550: D29600A5 00023B1C
	v_mov_b32_e32 v28, v180                                    // 00000000A558: 7E3803B4
	v_mov_b32_e32 v29, v181                                    // 00000000A55C: 7E3A03B5
	v_cvt_pkrtz_f16_f32 v166, v28, v29                         // 00000000A560: D29600A6 00023B1C
	v_mov_b32_e32 v28, v182                                    // 00000000A568: 7E3803B6
	v_mov_b32_e32 v29, v183                                    // 00000000A56C: 7E3A03B7
	v_cvt_pkrtz_f16_f32 v167, v28, v29                         // 00000000A570: D29600A7 00023B1C
	ds_write_b64 v25, v[152:153]                               // 00000000A578: D89A0000 00009819
	ds_write_b64 v25, v[154:155] offset:528                    // 00000000A580: D89A0210 00009A19
	ds_write_b64 v25, v[156:157] offset:1056                   // 00000000A588: D89A0420 00009C19
	ds_write_b64 v25, v[158:159] offset:1584                   // 00000000A590: D89A0630 00009E19
	ds_write_b64 v25, v[160:161] offset:2112                   // 00000000A598: D89A0840 0000A019
	ds_write_b64 v25, v[162:163] offset:2640                   // 00000000A5A0: D89A0A50 0000A219
	ds_write_b64 v25, v[164:165] offset:3168                   // 00000000A5A8: D89A0C60 0000A419
	ds_write_b64 v25, v[166:167] offset:3696                   // 00000000A5B0: D89A0E70 0000A619
	s_waitcnt lgkmcnt(0)                                       // 00000000A5B8: BF8CC07F
	s_barrier                                                  // 00000000A5BC: BF8A0000
	ds_read_b64 v[152:153], v24                                // 00000000A5C0: D8EC0000 98000018
	ds_read_b64 v[154:155], v24 offset:128                     // 00000000A5C8: D8EC0080 9A000018
	ds_read_b64 v[156:157], v24 offset:32                      // 00000000A5D0: D8EC0020 9C000018
	ds_read_b64 v[158:159], v24 offset:160                     // 00000000A5D8: D8EC00A0 9E000018
	ds_read_b64 v[160:161], v24 offset:64                      // 00000000A5E0: D8EC0040 A0000018
	ds_read_b64 v[162:163], v24 offset:192                     // 00000000A5E8: D8EC00C0 A2000018
	ds_read_b64 v[164:165], v24 offset:96                      // 00000000A5F0: D8EC0060 A4000018
	ds_read_b64 v[166:167], v24 offset:224                     // 00000000A5F8: D8EC00E0 A6000018
	s_waitcnt lgkmcnt(0)                                       // 00000000A600: BF8CC07F
	s_mov_b32 s70, s53                                         // 00000000A604: BEC60035
	s_mov_b64 exec, s[80:81]                                   // 00000000A608: BEFE0150
	buffer_store_dwordx4 v[152:155], v6, s[40:43], 0 idxen     // 00000000A60C: E07C2000 800A9806
	s_mov_b32 exec_lo, -1                                      // 00000000A614: BEFE00C1
	s_mov_b32 exec_hi, -1                                      // 00000000A618: BEFF00C1
	v_add_u32_e32 v6, s70, v6                                  // 00000000A61C: 680C0C46
	s_mov_b64 exec, s[80:81]                                   // 00000000A620: BEFE0150
	buffer_store_dwordx4 v[156:159], v6, s[40:43], 0 idxen     // 00000000A624: E07C2000 800A9C06
	s_mov_b32 exec_lo, -1                                      // 00000000A62C: BEFE00C1
	s_mov_b32 exec_hi, -1                                      // 00000000A630: BEFF00C1
	v_add_u32_e32 v6, s70, v6                                  // 00000000A634: 680C0C46
	s_mov_b64 exec, s[80:81]                                   // 00000000A638: BEFE0150
	buffer_store_dwordx4 v[160:163], v6, s[40:43], 0 idxen     // 00000000A63C: E07C2000 800AA006
	s_mov_b32 exec_lo, -1                                      // 00000000A644: BEFE00C1
	s_mov_b32 exec_hi, -1                                      // 00000000A648: BEFF00C1
	v_add_u32_e32 v6, s70, v6                                  // 00000000A64C: 680C0C46
	s_mov_b64 exec, s[80:81]                                   // 00000000A650: BEFE0150
	buffer_store_dwordx4 v[164:167], v6, s[40:43], 0 idxen     // 00000000A654: E07C2000 800AA406
	s_mov_b32 exec_lo, -1                                      // 00000000A65C: BEFE00C1
	s_mov_b32 exec_hi, -1                                      // 00000000A660: BEFF00C1
	v_add_u32_e32 v6, s70, v6                                  // 00000000A664: 680C0C46
	s_mul_i32 s60, 12, s70                                     // 00000000A668: 923C468C
	v_add_u32_e32 v6, s60, v6                                  // 00000000A66C: 680C0C3C
	s_cmp_ge_i32 1, s72                                        // 00000000A670: BF034881
	s_cbranch_scc1 label_1B32                                  // 00000000A674: BF850100
	v_mov_b32_e32 v28, v184                                    // 00000000A678: 7E3803B8
	v_mov_b32_e32 v29, v185                                    // 00000000A67C: 7E3A03B9
	v_cvt_pkrtz_f16_f32 v168, v28, v29                         // 00000000A680: D29600A8 00023B1C
	v_mov_b32_e32 v28, v186                                    // 00000000A688: 7E3803BA
	v_mov_b32_e32 v29, v187                                    // 00000000A68C: 7E3A03BB
	v_cvt_pkrtz_f16_f32 v169, v28, v29                         // 00000000A690: D29600A9 00023B1C
	v_mov_b32_e32 v28, v188                                    // 00000000A698: 7E3803BC
	v_mov_b32_e32 v29, v189                                    // 00000000A69C: 7E3A03BD
	v_cvt_pkrtz_f16_f32 v170, v28, v29                         // 00000000A6A0: D29600AA 00023B1C
	v_mov_b32_e32 v28, v190                                    // 00000000A6A8: 7E3803BE
	v_mov_b32_e32 v29, v191                                    // 00000000A6AC: 7E3A03BF
	v_cvt_pkrtz_f16_f32 v171, v28, v29                         // 00000000A6B0: D29600AB 00023B1C
	v_mov_b32_e32 v28, v192                                    // 00000000A6B8: 7E3803C0
	v_mov_b32_e32 v29, v193                                    // 00000000A6BC: 7E3A03C1
	v_cvt_pkrtz_f16_f32 v172, v28, v29                         // 00000000A6C0: D29600AC 00023B1C
	v_mov_b32_e32 v28, v194                                    // 00000000A6C8: 7E3803C2
	v_mov_b32_e32 v29, v195                                    // 00000000A6CC: 7E3A03C3
	v_cvt_pkrtz_f16_f32 v173, v28, v29                         // 00000000A6D0: D29600AD 00023B1C
	v_mov_b32_e32 v28, v196                                    // 00000000A6D8: 7E3803C4
	v_mov_b32_e32 v29, v197                                    // 00000000A6DC: 7E3A03C5
	v_cvt_pkrtz_f16_f32 v174, v28, v29                         // 00000000A6E0: D29600AE 00023B1C
	v_mov_b32_e32 v28, v198                                    // 00000000A6E8: 7E3803C6
	v_mov_b32_e32 v29, v199                                    // 00000000A6EC: 7E3A03C7
	v_cvt_pkrtz_f16_f32 v175, v28, v29                         // 00000000A6F0: D29600AF 00023B1C
	v_mov_b32_e32 v28, v200                                    // 00000000A6F8: 7E3803C8
	v_mov_b32_e32 v29, v201                                    // 00000000A6FC: 7E3A03C9
	v_cvt_pkrtz_f16_f32 v176, v28, v29                         // 00000000A700: D29600B0 00023B1C
	v_mov_b32_e32 v28, v202                                    // 00000000A708: 7E3803CA
	v_mov_b32_e32 v29, v203                                    // 00000000A70C: 7E3A03CB
	v_cvt_pkrtz_f16_f32 v177, v28, v29                         // 00000000A710: D29600B1 00023B1C
	v_mov_b32_e32 v28, v204                                    // 00000000A718: 7E3803CC
	v_mov_b32_e32 v29, v205                                    // 00000000A71C: 7E3A03CD
	v_cvt_pkrtz_f16_f32 v178, v28, v29                         // 00000000A720: D29600B2 00023B1C
	v_mov_b32_e32 v28, v206                                    // 00000000A728: 7E3803CE
	v_mov_b32_e32 v29, v207                                    // 00000000A72C: 7E3A03CF
	v_cvt_pkrtz_f16_f32 v179, v28, v29                         // 00000000A730: D29600B3 00023B1C
	v_mov_b32_e32 v28, v208                                    // 00000000A738: 7E3803D0
	v_mov_b32_e32 v29, v209                                    // 00000000A73C: 7E3A03D1
	v_cvt_pkrtz_f16_f32 v180, v28, v29                         // 00000000A740: D29600B4 00023B1C
	v_mov_b32_e32 v28, v210                                    // 00000000A748: 7E3803D2
	v_mov_b32_e32 v29, v211                                    // 00000000A74C: 7E3A03D3
	v_cvt_pkrtz_f16_f32 v181, v28, v29                         // 00000000A750: D29600B5 00023B1C
	v_mov_b32_e32 v28, v212                                    // 00000000A758: 7E3803D4
	v_mov_b32_e32 v29, v213                                    // 00000000A75C: 7E3A03D5
	v_cvt_pkrtz_f16_f32 v182, v28, v29                         // 00000000A760: D29600B6 00023B1C
	v_mov_b32_e32 v28, v214                                    // 00000000A768: 7E3803D6
	v_mov_b32_e32 v29, v215                                    // 00000000A76C: 7E3A03D7
	v_cvt_pkrtz_f16_f32 v183, v28, v29                         // 00000000A770: D29600B7 00023B1C
	ds_write_b64 v25, v[168:169] offset:16896                  // 00000000A778: D89A4200 0000A819
	ds_write_b64 v25, v[170:171] offset:17424                  // 00000000A780: D89A4410 0000AA19
	ds_write_b64 v25, v[172:173] offset:17952                  // 00000000A788: D89A4620 0000AC19
	ds_write_b64 v25, v[174:175] offset:18480                  // 00000000A790: D89A4830 0000AE19
	ds_write_b64 v25, v[176:177] offset:19008                  // 00000000A798: D89A4A40 0000B019
	ds_write_b64 v25, v[178:179] offset:19536                  // 00000000A7A0: D89A4C50 0000B219
	ds_write_b64 v25, v[180:181] offset:20064                  // 00000000A7A8: D89A4E60 0000B419
	ds_write_b64 v25, v[182:183] offset:20592                  // 00000000A7B0: D89A5070 0000B619
	s_waitcnt lgkmcnt(0)                                       // 00000000A7B8: BF8CC07F
	s_barrier                                                  // 00000000A7BC: BF8A0000
	ds_read_b64 v[168:169], v24 offset:16896                   // 00000000A7C0: D8EC4200 A8000018
	ds_read_b64 v[170:171], v24 offset:17024                   // 00000000A7C8: D8EC4280 AA000018
	ds_read_b64 v[172:173], v24 offset:16928                   // 00000000A7D0: D8EC4220 AC000018
	ds_read_b64 v[174:175], v24 offset:17056                   // 00000000A7D8: D8EC42A0 AE000018
	ds_read_b64 v[176:177], v24 offset:16960                   // 00000000A7E0: D8EC4240 B0000018
	ds_read_b64 v[178:179], v24 offset:17088                   // 00000000A7E8: D8EC42C0 B2000018
	ds_read_b64 v[180:181], v24 offset:16992                   // 00000000A7F0: D8EC4260 B4000018
	ds_read_b64 v[182:183], v24 offset:17120                   // 00000000A7F8: D8EC42E0 B6000018
	s_waitcnt lgkmcnt(0)                                       // 00000000A800: BF8CC07F
	s_mov_b32 s70, s53                                         // 00000000A804: BEC60035
	s_mov_b64 exec, s[80:81]                                   // 00000000A808: BEFE0150
	buffer_store_dwordx4 v[168:171], v6, s[40:43], 0 idxen     // 00000000A80C: E07C2000 800AA806
	s_mov_b32 exec_lo, -1                                      // 00000000A814: BEFE00C1
	s_mov_b32 exec_hi, -1                                      // 00000000A818: BEFF00C1
	v_add_u32_e32 v6, s70, v6                                  // 00000000A81C: 680C0C46
	s_mov_b64 exec, s[80:81]                                   // 00000000A820: BEFE0150
	buffer_store_dwordx4 v[172:175], v6, s[40:43], 0 idxen     // 00000000A824: E07C2000 800AAC06
	s_mov_b32 exec_lo, -1                                      // 00000000A82C: BEFE00C1
	s_mov_b32 exec_hi, -1                                      // 00000000A830: BEFF00C1
	v_add_u32_e32 v6, s70, v6                                  // 00000000A834: 680C0C46
	s_mov_b64 exec, s[80:81]                                   // 00000000A838: BEFE0150
	buffer_store_dwordx4 v[176:179], v6, s[40:43], 0 idxen     // 00000000A83C: E07C2000 800AB006
	s_mov_b32 exec_lo, -1                                      // 00000000A844: BEFE00C1
	s_mov_b32 exec_hi, -1                                      // 00000000A848: BEFF00C1
	v_add_u32_e32 v6, s70, v6                                  // 00000000A84C: 680C0C46
	s_mov_b64 exec, s[80:81]                                   // 00000000A850: BEFE0150
	buffer_store_dwordx4 v[180:183], v6, s[40:43], 0 idxen     // 00000000A854: E07C2000 800AB406
	s_mov_b32 exec_lo, -1                                      // 00000000A85C: BEFE00C1
	s_mov_b32 exec_hi, -1                                      // 00000000A860: BEFF00C1
	v_add_u32_e32 v6, s70, v6                                  // 00000000A864: 680C0C46
	s_mul_i32 s60, 12, s70                                     // 00000000A868: 923C468C
	v_add_u32_e32 v6, s60, v6                                  // 00000000A86C: 680C0C3C
	s_cmp_ge_i32 2, s72                                        // 00000000A870: BF034882
	s_cbranch_scc1 label_1B32                                  // 00000000A874: BF850080
	v_mov_b32_e32 v28, v216                                    // 00000000A878: 7E3803D8
	v_mov_b32_e32 v29, v217                                    // 00000000A87C: 7E3A03D9
	v_cvt_pkrtz_f16_f32 v184, v28, v29                         // 00000000A880: D29600B8 00023B1C
	v_mov_b32_e32 v28, v218                                    // 00000000A888: 7E3803DA
	v_mov_b32_e32 v29, v219                                    // 00000000A88C: 7E3A03DB
	v_cvt_pkrtz_f16_f32 v185, v28, v29                         // 00000000A890: D29600B9 00023B1C
	v_mov_b32_e32 v28, v220                                    // 00000000A898: 7E3803DC
	v_mov_b32_e32 v29, v221                                    // 00000000A89C: 7E3A03DD
	v_cvt_pkrtz_f16_f32 v186, v28, v29                         // 00000000A8A0: D29600BA 00023B1C
	v_mov_b32_e32 v28, v222                                    // 00000000A8A8: 7E3803DE
	v_mov_b32_e32 v29, v223                                    // 00000000A8AC: 7E3A03DF
	v_cvt_pkrtz_f16_f32 v187, v28, v29                         // 00000000A8B0: D29600BB 00023B1C
	v_mov_b32_e32 v28, v224                                    // 00000000A8B8: 7E3803E0
	v_mov_b32_e32 v29, v225                                    // 00000000A8BC: 7E3A03E1
	v_cvt_pkrtz_f16_f32 v188, v28, v29                         // 00000000A8C0: D29600BC 00023B1C
	v_mov_b32_e32 v28, v226                                    // 00000000A8C8: 7E3803E2
	v_mov_b32_e32 v29, v227                                    // 00000000A8CC: 7E3A03E3
	v_cvt_pkrtz_f16_f32 v189, v28, v29                         // 00000000A8D0: D29600BD 00023B1C
	v_mov_b32_e32 v28, v228                                    // 00000000A8D8: 7E3803E4
	v_mov_b32_e32 v29, v229                                    // 00000000A8DC: 7E3A03E5
	v_cvt_pkrtz_f16_f32 v190, v28, v29                         // 00000000A8E0: D29600BE 00023B1C
	v_mov_b32_e32 v28, v230                                    // 00000000A8E8: 7E3803E6
	v_mov_b32_e32 v29, v231                                    // 00000000A8EC: 7E3A03E7
	v_cvt_pkrtz_f16_f32 v191, v28, v29                         // 00000000A8F0: D29600BF 00023B1C
	v_mov_b32_e32 v28, v232                                    // 00000000A8F8: 7E3803E8
	v_mov_b32_e32 v29, v233                                    // 00000000A8FC: 7E3A03E9
	v_cvt_pkrtz_f16_f32 v192, v28, v29                         // 00000000A900: D29600C0 00023B1C
	v_mov_b32_e32 v28, v234                                    // 00000000A908: 7E3803EA
	v_mov_b32_e32 v29, v235                                    // 00000000A90C: 7E3A03EB
	v_cvt_pkrtz_f16_f32 v193, v28, v29                         // 00000000A910: D29600C1 00023B1C
	v_mov_b32_e32 v28, v236                                    // 00000000A918: 7E3803EC
	v_mov_b32_e32 v29, v237                                    // 00000000A91C: 7E3A03ED
	v_cvt_pkrtz_f16_f32 v194, v28, v29                         // 00000000A920: D29600C2 00023B1C
	v_mov_b32_e32 v28, v238                                    // 00000000A928: 7E3803EE
	v_mov_b32_e32 v29, v239                                    // 00000000A92C: 7E3A03EF
	v_cvt_pkrtz_f16_f32 v195, v28, v29                         // 00000000A930: D29600C3 00023B1C
	v_mov_b32_e32 v28, v240                                    // 00000000A938: 7E3803F0
	v_mov_b32_e32 v29, v241                                    // 00000000A93C: 7E3A03F1
	v_cvt_pkrtz_f16_f32 v196, v28, v29                         // 00000000A940: D29600C4 00023B1C
	v_mov_b32_e32 v28, v242                                    // 00000000A948: 7E3803F2
	v_mov_b32_e32 v29, v243                                    // 00000000A94C: 7E3A03F3
	v_cvt_pkrtz_f16_f32 v197, v28, v29                         // 00000000A950: D29600C5 00023B1C
	v_mov_b32_e32 v28, v244                                    // 00000000A958: 7E3803F4
	v_mov_b32_e32 v29, v245                                    // 00000000A95C: 7E3A03F5
	v_cvt_pkrtz_f16_f32 v198, v28, v29                         // 00000000A960: D29600C6 00023B1C
	v_mov_b32_e32 v28, v246                                    // 00000000A968: 7E3803F6
	v_mov_b32_e32 v29, v247                                    // 00000000A96C: 7E3A03F7
	v_cvt_pkrtz_f16_f32 v199, v28, v29                         // 00000000A970: D29600C7 00023B1C
	ds_write_b64 v25, v[184:185] offset:33792                  // 00000000A978: D89A8400 0000B819
	ds_write_b64 v25, v[186:187] offset:34320                  // 00000000A980: D89A8610 0000BA19
	ds_write_b64 v25, v[188:189] offset:34848                  // 00000000A988: D89A8820 0000BC19
	ds_write_b64 v25, v[190:191] offset:35376                  // 00000000A990: D89A8A30 0000BE19
	ds_write_b64 v25, v[192:193] offset:35904                  // 00000000A998: D89A8C40 0000C019
	ds_write_b64 v25, v[194:195] offset:36432                  // 00000000A9A0: D89A8E50 0000C219
	ds_write_b64 v25, v[196:197] offset:36960                  // 00000000A9A8: D89A9060 0000C419
	ds_write_b64 v25, v[198:199] offset:37488                  // 00000000A9B0: D89A9270 0000C619
	s_waitcnt lgkmcnt(0)                                       // 00000000A9B8: BF8CC07F
	s_barrier                                                  // 00000000A9BC: BF8A0000
	ds_read_b64 v[184:185], v24 offset:33792                   // 00000000A9C0: D8EC8400 B8000018
	ds_read_b64 v[186:187], v24 offset:33920                   // 00000000A9C8: D8EC8480 BA000018
	ds_read_b64 v[188:189], v24 offset:33824                   // 00000000A9D0: D8EC8420 BC000018
	ds_read_b64 v[190:191], v24 offset:33952                   // 00000000A9D8: D8EC84A0 BE000018
	ds_read_b64 v[192:193], v24 offset:33856                   // 00000000A9E0: D8EC8440 C0000018
	ds_read_b64 v[194:195], v24 offset:33984                   // 00000000A9E8: D8EC84C0 C2000018
	ds_read_b64 v[196:197], v24 offset:33888                   // 00000000A9F0: D8EC8460 C4000018
	ds_read_b64 v[198:199], v24 offset:34016                   // 00000000A9F8: D8EC84E0 C6000018
	s_waitcnt lgkmcnt(0)                                       // 00000000AA00: BF8CC07F
	s_mov_b32 s70, s53                                         // 00000000AA04: BEC60035
	s_mov_b64 exec, s[80:81]                                   // 00000000AA08: BEFE0150
	buffer_store_dwordx4 v[184:187], v6, s[40:43], 0 idxen     // 00000000AA0C: E07C2000 800AB806
	s_mov_b32 exec_lo, -1                                      // 00000000AA14: BEFE00C1
	s_mov_b32 exec_hi, -1                                      // 00000000AA18: BEFF00C1
	v_add_u32_e32 v6, s70, v6                                  // 00000000AA1C: 680C0C46
	s_mov_b64 exec, s[80:81]                                   // 00000000AA20: BEFE0150
	buffer_store_dwordx4 v[188:191], v6, s[40:43], 0 idxen     // 00000000AA24: E07C2000 800ABC06
	s_mov_b32 exec_lo, -1                                      // 00000000AA2C: BEFE00C1
	s_mov_b32 exec_hi, -1                                      // 00000000AA30: BEFF00C1
	v_add_u32_e32 v6, s70, v6                                  // 00000000AA34: 680C0C46
	s_mov_b64 exec, s[80:81]                                   // 00000000AA38: BEFE0150
	buffer_store_dwordx4 v[192:195], v6, s[40:43], 0 idxen     // 00000000AA3C: E07C2000 800AC006
	s_mov_b32 exec_lo, -1                                      // 00000000AA44: BEFE00C1
	s_mov_b32 exec_hi, -1                                      // 00000000AA48: BEFF00C1
	v_add_u32_e32 v6, s70, v6                                  // 00000000AA4C: 680C0C46
	s_mov_b64 exec, s[80:81]                                   // 00000000AA50: BEFE0150
	buffer_store_dwordx4 v[196:199], v6, s[40:43], 0 idxen     // 00000000AA54: E07C2000 800AC406
	s_mov_b32 exec_lo, -1                                      // 00000000AA5C: BEFE00C1
	s_mov_b32 exec_hi, -1                                      // 00000000AA60: BEFF00C1
	v_add_u32_e32 v6, s70, v6                                  // 00000000AA64: 680C0C46
	s_mul_i32 s60, 12, s70                                     // 00000000AA68: 923C468C
	v_add_u32_e32 v6, s60, v6                                  // 00000000AA6C: 680C0C3C
	s_cmp_ge_i32 3, s72                                        // 00000000AA70: BF034883
	s_cbranch_scc1 label_1B32                                  // 00000000AA74: BF850000

000000000000aa78 <label_1B32>:
	s_waitcnt vmcnt(0) expcnt(0) lgkmcnt(0)                    // 00000000AA78: BF8C0000
	s_sub_i32 s60, s77, 1                                      // 00000000AA7C: 81BC814D
	s_sub_i32 s2, s60, s2                                      // 00000000AA80: 8182023C
	s_addk_i32 s75, 0x1                                        // 00000000AA84: B74B0001
	s_cmp_lt_i32 s75, s76                                      // 00000000AA88: BF044C4B
	s_cbranch_scc1 label_015D                                  // 00000000AA8C: BF85E639

000000000000aa90 <label_1B38>:
	s_waitcnt vmcnt(0) expcnt(0) lgkmcnt(0)                    // 00000000AA90: BF8C0000
	s_endpgm                                                   // 00000000AA94: BF810000
